;; amdgpu-corpus repo=ROCm/rocFFT kind=compiled arch=gfx906 opt=O3
	.text
	.amdgcn_target "amdgcn-amd-amdhsa--gfx906"
	.amdhsa_code_object_version 6
	.protected	bluestein_single_back_len1836_dim1_half_op_CI_CI ; -- Begin function bluestein_single_back_len1836_dim1_half_op_CI_CI
	.globl	bluestein_single_back_len1836_dim1_half_op_CI_CI
	.p2align	8
	.type	bluestein_single_back_len1836_dim1_half_op_CI_CI,@function
bluestein_single_back_len1836_dim1_half_op_CI_CI: ; @bluestein_single_back_len1836_dim1_half_op_CI_CI
; %bb.0:
	s_load_dwordx4 s[0:3], s[4:5], 0x28
	v_mul_u32_u24_e32 v1, 0x1ad, v0
	v_add_u32_sdwa v8, s6, v1 dst_sel:DWORD dst_unused:UNUSED_PAD src0_sel:DWORD src1_sel:WORD_1
	v_mov_b32_e32 v9, 0
	s_waitcnt lgkmcnt(0)
	v_cmp_gt_u64_e32 vcc, s[0:1], v[8:9]
	s_and_saveexec_b64 s[0:1], vcc
	s_cbranch_execz .LBB0_15
; %bb.1:
	s_load_dwordx2 s[6:7], s[4:5], 0x0
	s_load_dwordx2 s[12:13], s[4:5], 0x38
	s_movk_i32 s0, 0x99
	v_mul_lo_u16_sdwa v1, v1, s0 dst_sel:DWORD dst_unused:UNUSED_PAD src0_sel:WORD_1 src1_sel:DWORD
	v_sub_u16_e32 v43, v0, v1
	s_movk_i32 s0, 0x6c
	v_cmp_gt_u16_e64 s[0:1], s0, v43
	v_lshlrev_b32_e32 v41, 2, v43
	s_and_saveexec_b64 s[8:9], s[0:1]
	s_cbranch_execz .LBB0_3
; %bb.2:
	s_load_dwordx2 s[10:11], s[4:5], 0x18
	s_waitcnt lgkmcnt(0)
	v_mov_b32_e32 v13, s7
	v_add_u32_e32 v14, 0x200, v41
	s_load_dwordx4 s[16:19], s[10:11], 0x0
	s_waitcnt lgkmcnt(0)
	v_mad_u64_u32 v[0:1], s[10:11], s18, v8, 0
	v_mad_u64_u32 v[2:3], s[10:11], s16, v43, 0
	;; [unrolled: 1-line block ×4, first 2 shown]
	v_mov_b32_e32 v1, v4
	v_lshlrev_b64 v[0:1], 2, v[0:1]
	v_mov_b32_e32 v3, v5
	v_mov_b32_e32 v6, s3
	v_lshlrev_b64 v[2:3], 2, v[2:3]
	v_add_co_u32_e32 v0, vcc, s2, v0
	v_addc_co_u32_e32 v1, vcc, v6, v1, vcc
	v_add_co_u32_e32 v0, vcc, v0, v2
	s_mul_i32 s2, s17, 0x1b0
	s_mul_hi_u32 s3, s16, 0x1b0
	v_addc_co_u32_e32 v1, vcc, v1, v3, vcc
	s_add_i32 s2, s3, s2
	s_mul_i32 s3, s16, 0x1b0
	v_mov_b32_e32 v3, s2
	v_add_co_u32_e32 v2, vcc, s3, v0
	v_addc_co_u32_e32 v3, vcc, v1, v3, vcc
	global_load_dword v4, v[0:1], off
	global_load_dword v5, v[2:3], off
	global_load_dword v6, v41, s[6:7]
	global_load_dword v7, v41, s[6:7] offset:432
	v_mov_b32_e32 v1, s2
	v_add_co_u32_e32 v0, vcc, s3, v2
	v_addc_co_u32_e32 v1, vcc, v3, v1, vcc
	global_load_dword v2, v[0:1], off
	global_load_dword v3, v41, s[6:7] offset:864
	v_mov_b32_e32 v9, s2
	v_add_co_u32_e32 v0, vcc, s3, v0
	v_addc_co_u32_e32 v1, vcc, v1, v9, vcc
	global_load_dword v9, v[0:1], off
	;; [unrolled: 5-line block ×3, first 2 shown]
	global_load_dword v12, v41, s[6:7] offset:1728
	v_add_co_u32_e32 v18, vcc, s6, v41
	v_addc_co_u32_e32 v13, vcc, 0, v13, vcc
	v_mov_b32_e32 v19, s2
	v_add_co_u32_e32 v0, vcc, s3, v0
	v_addc_co_u32_e32 v1, vcc, v1, v19, vcc
	global_load_dword v15, v41, s[6:7] offset:2160
	global_load_dword v16, v41, s[6:7] offset:2592
	;; [unrolled: 1-line block ×3, first 2 shown]
	global_load_dword v19, v[0:1], off
	v_mov_b32_e32 v20, s2
	v_add_co_u32_e32 v0, vcc, s3, v0
	v_addc_co_u32_e32 v1, vcc, v1, v20, vcc
	global_load_dword v20, v[0:1], off
	v_mov_b32_e32 v21, s2
	v_add_co_u32_e32 v0, vcc, s3, v0
	v_addc_co_u32_e32 v1, vcc, v1, v21, vcc
	s_movk_i32 s10, 0x1000
	v_mov_b32_e32 v27, s2
	s_waitcnt vmcnt(14)
	v_lshrrev_b32_e32 v22, 16, v4
	s_waitcnt vmcnt(12)
	v_mul_f16_sdwa v23, v6, v4 dst_sel:DWORD dst_unused:UNUSED_PAD src0_sel:WORD_1 src1_sel:DWORD
	v_mul_f16_sdwa v24, v6, v22 dst_sel:DWORD dst_unused:UNUSED_PAD src0_sel:WORD_1 src1_sel:DWORD
	v_fma_f16 v22, v6, v22, -v23
	v_lshrrev_b32_e32 v23, 16, v5
	s_waitcnt vmcnt(11)
	v_mul_f16_sdwa v25, v7, v5 dst_sel:DWORD dst_unused:UNUSED_PAD src0_sel:WORD_1 src1_sel:DWORD
	v_fma_f16 v4, v6, v4, v24
	v_mul_f16_sdwa v6, v7, v23 dst_sel:DWORD dst_unused:UNUSED_PAD src0_sel:WORD_1 src1_sel:DWORD
	s_waitcnt vmcnt(10)
	v_lshrrev_b32_e32 v24, 16, v2
	v_fma_f16 v23, v7, v23, -v25
	s_waitcnt vmcnt(9)
	v_mul_f16_sdwa v25, v3, v2 dst_sel:DWORD dst_unused:UNUSED_PAD src0_sel:WORD_1 src1_sel:DWORD
	v_pack_b32_f16 v4, v4, v22
	v_fma_f16 v5, v7, v5, v6
	v_mul_f16_sdwa v6, v3, v24 dst_sel:DWORD dst_unused:UNUSED_PAD src0_sel:WORD_1 src1_sel:DWORD
	s_waitcnt vmcnt(8)
	v_lshrrev_b32_e32 v22, 16, v9
	v_fma_f16 v7, v3, v24, -v25
	s_waitcnt vmcnt(7)
	v_mul_f16_sdwa v24, v10, v9 dst_sel:DWORD dst_unused:UNUSED_PAD src0_sel:WORD_1 src1_sel:DWORD
	v_fma_f16 v2, v3, v2, v6
	v_mul_f16_sdwa v3, v10, v22 dst_sel:DWORD dst_unused:UNUSED_PAD src0_sel:WORD_1 src1_sel:DWORD
	v_fma_f16 v6, v10, v22, -v24
	v_fma_f16 v3, v10, v9, v3
	v_pack_b32_f16 v3, v3, v6
	global_load_dword v6, v[0:1], off
	v_pack_b32_f16 v5, v5, v23
	v_pack_b32_f16 v2, v2, v7
	ds_write2_b32 v41, v4, v5 offset1:108
	ds_write2_b32 v14, v2, v3 offset0:88 offset1:196
	v_mov_b32_e32 v2, s2
	v_add_co_u32_e32 v0, vcc, s3, v0
	v_addc_co_u32_e32 v1, vcc, v1, v2, vcc
	s_waitcnt vmcnt(7)
	v_lshrrev_b32_e32 v22, 16, v11
	global_load_dword v7, v[0:1], off
	v_add_co_u32_e32 v0, vcc, s3, v0
	s_waitcnt vmcnt(7)
	v_mul_f16_sdwa v4, v12, v22 dst_sel:DWORD dst_unused:UNUSED_PAD src0_sel:WORD_1 src1_sel:DWORD
	v_addc_co_u32_e32 v1, vcc, v1, v2, vcc
	v_mul_f16_sdwa v23, v12, v11 dst_sel:DWORD dst_unused:UNUSED_PAD src0_sel:WORD_1 src1_sel:DWORD
	v_fma_f16 v4, v12, v11, v4
	global_load_dword v9, v[0:1], off
	global_load_dword v10, v41, s[6:7] offset:3456
	global_load_dword v11, v41, s[6:7] offset:3888
	v_add_co_u32_e32 v0, vcc, s3, v0
	v_addc_co_u32_e32 v1, vcc, v1, v2, vcc
	v_add_co_u32_e32 v2, vcc, s10, v18
	v_fma_f16 v5, v12, v22, -v23
	global_load_dword v12, v[0:1], off
	v_addc_co_u32_e32 v3, vcc, 0, v13, vcc
	global_load_dword v13, v[2:3], off offset:224
	v_mov_b32_e32 v14, s2
	v_add_co_u32_e32 v0, vcc, s3, v0
	v_addc_co_u32_e32 v1, vcc, v1, v14, vcc
	global_load_dword v14, v[0:1], off
	global_load_dword v18, v[2:3], off offset:656
	v_add_co_u32_e32 v0, vcc, s3, v0
	v_addc_co_u32_e32 v1, vcc, v1, v21, vcc
	global_load_dword v21, v[0:1], off
	global_load_dword v22, v[2:3], off offset:1088
	v_mov_b32_e32 v23, s2
	v_add_co_u32_e32 v0, vcc, s3, v0
	v_addc_co_u32_e32 v1, vcc, v1, v23, vcc
	global_load_dword v23, v[0:1], off
	global_load_dword v24, v[2:3], off offset:1520
	v_mov_b32_e32 v25, s2
	v_add_co_u32_e32 v0, vcc, s3, v0
	v_addc_co_u32_e32 v1, vcc, v1, v25, vcc
	global_load_dword v25, v[0:1], off
	global_load_dword v26, v[2:3], off offset:1952
	v_add_co_u32_e32 v0, vcc, s3, v0
	v_addc_co_u32_e32 v1, vcc, v1, v27, vcc
	global_load_dword v27, v[0:1], off
	global_load_dword v28, v[2:3], off offset:2384
	v_pack_b32_f16 v4, v4, v5
	v_mov_b32_e32 v5, s2
	v_add_co_u32_e32 v0, vcc, s3, v0
	v_addc_co_u32_e32 v1, vcc, v1, v5, vcc
	global_load_dword v5, v[0:1], off
	global_load_dword v29, v[2:3], off offset:2816
	s_waitcnt vmcnt(20)
	v_lshrrev_b32_e32 v0, 16, v19
	v_mul_f16_sdwa v1, v15, v0 dst_sel:DWORD dst_unused:UNUSED_PAD src0_sel:WORD_1 src1_sel:DWORD
	v_mul_f16_sdwa v2, v15, v19 dst_sel:DWORD dst_unused:UNUSED_PAD src0_sel:WORD_1 src1_sel:DWORD
	v_fma_f16 v1, v15, v19, v1
	v_fma_f16 v0, v15, v0, -v2
	v_pack_b32_f16 v0, v1, v0
	v_add_u32_e32 v1, 0x600, v41
	ds_write2_b32 v1, v4, v0 offset0:48 offset1:156
	s_waitcnt vmcnt(19)
	v_lshrrev_b32_e32 v0, 16, v20
	v_mul_f16_sdwa v1, v16, v0 dst_sel:DWORD dst_unused:UNUSED_PAD src0_sel:WORD_1 src1_sel:DWORD
	v_mul_f16_sdwa v2, v16, v20 dst_sel:DWORD dst_unused:UNUSED_PAD src0_sel:WORD_1 src1_sel:DWORD
	v_fma_f16 v1, v16, v20, v1
	v_fma_f16 v0, v16, v0, -v2
	v_pack_b32_f16 v0, v1, v0
	s_waitcnt vmcnt(18)
	v_lshrrev_b32_e32 v1, 16, v6
	v_mul_f16_sdwa v2, v17, v1 dst_sel:DWORD dst_unused:UNUSED_PAD src0_sel:WORD_1 src1_sel:DWORD
	v_mul_f16_sdwa v3, v17, v6 dst_sel:DWORD dst_unused:UNUSED_PAD src0_sel:WORD_1 src1_sel:DWORD
	v_fma_f16 v2, v17, v6, v2
	v_fma_f16 v1, v17, v1, -v3
	v_pack_b32_f16 v1, v2, v1
	v_add_u32_e32 v2, 0x800, v41
	ds_write2_b32 v2, v0, v1 offset0:136 offset1:244
	s_waitcnt vmcnt(17)
	v_lshrrev_b32_e32 v0, 16, v7
	s_waitcnt vmcnt(15)
	v_mul_f16_sdwa v1, v10, v0 dst_sel:DWORD dst_unused:UNUSED_PAD src0_sel:WORD_1 src1_sel:DWORD
	v_mul_f16_sdwa v2, v10, v7 dst_sel:DWORD dst_unused:UNUSED_PAD src0_sel:WORD_1 src1_sel:DWORD
	v_fma_f16 v1, v10, v7, v1
	v_fma_f16 v0, v10, v0, -v2
	v_pack_b32_f16 v0, v1, v0
	v_lshrrev_b32_e32 v1, 16, v9
	s_waitcnt vmcnt(14)
	v_mul_f16_sdwa v2, v11, v1 dst_sel:DWORD dst_unused:UNUSED_PAD src0_sel:WORD_1 src1_sel:DWORD
	v_mul_f16_sdwa v3, v11, v9 dst_sel:DWORD dst_unused:UNUSED_PAD src0_sel:WORD_1 src1_sel:DWORD
	v_fma_f16 v2, v11, v9, v2
	v_fma_f16 v1, v11, v1, -v3
	v_pack_b32_f16 v1, v2, v1
	v_add_u32_e32 v2, 0xc00, v41
	ds_write2_b32 v2, v0, v1 offset0:96 offset1:204
	s_waitcnt vmcnt(13)
	v_lshrrev_b32_e32 v0, 16, v12
	s_waitcnt vmcnt(12)
	v_mul_f16_sdwa v1, v13, v0 dst_sel:DWORD dst_unused:UNUSED_PAD src0_sel:WORD_1 src1_sel:DWORD
	v_mul_f16_sdwa v2, v13, v12 dst_sel:DWORD dst_unused:UNUSED_PAD src0_sel:WORD_1 src1_sel:DWORD
	v_fma_f16 v1, v13, v12, v1
	v_fma_f16 v0, v13, v0, -v2
	v_pack_b32_f16 v0, v1, v0
	s_waitcnt vmcnt(11)
	v_lshrrev_b32_e32 v1, 16, v14
	s_waitcnt vmcnt(10)
	v_mul_f16_sdwa v2, v18, v1 dst_sel:DWORD dst_unused:UNUSED_PAD src0_sel:WORD_1 src1_sel:DWORD
	v_mul_f16_sdwa v3, v18, v14 dst_sel:DWORD dst_unused:UNUSED_PAD src0_sel:WORD_1 src1_sel:DWORD
	v_fma_f16 v2, v18, v14, v2
	v_fma_f16 v1, v18, v1, -v3
	v_pack_b32_f16 v1, v2, v1
	v_add_u32_e32 v2, 0x1000, v41
	ds_write2_b32 v2, v0, v1 offset0:56 offset1:164
	s_waitcnt vmcnt(9)
	v_lshrrev_b32_e32 v0, 16, v21
	s_waitcnt vmcnt(8)
	v_mul_f16_sdwa v1, v22, v0 dst_sel:DWORD dst_unused:UNUSED_PAD src0_sel:WORD_1 src1_sel:DWORD
	v_mul_f16_sdwa v2, v22, v21 dst_sel:DWORD dst_unused:UNUSED_PAD src0_sel:WORD_1 src1_sel:DWORD
	v_fma_f16 v1, v22, v21, v1
	v_fma_f16 v0, v22, v0, -v2
	v_pack_b32_f16 v0, v1, v0
	s_waitcnt vmcnt(7)
	;; [unrolled: 18-line block ×3, first 2 shown]
	v_lshrrev_b32_e32 v1, 16, v27
	s_waitcnt vmcnt(2)
	v_mul_f16_sdwa v2, v28, v1 dst_sel:DWORD dst_unused:UNUSED_PAD src0_sel:WORD_1 src1_sel:DWORD
	v_mul_f16_sdwa v3, v28, v27 dst_sel:DWORD dst_unused:UNUSED_PAD src0_sel:WORD_1 src1_sel:DWORD
	v_fma_f16 v2, v28, v27, v2
	v_fma_f16 v1, v28, v1, -v3
	v_pack_b32_f16 v1, v2, v1
	v_add_u32_e32 v2, 0x1600, v41
	ds_write2_b32 v2, v0, v1 offset0:104 offset1:212
	s_waitcnt vmcnt(1)
	v_lshrrev_b32_e32 v0, 16, v5
	s_waitcnt vmcnt(0)
	v_mul_f16_sdwa v1, v29, v0 dst_sel:DWORD dst_unused:UNUSED_PAD src0_sel:WORD_1 src1_sel:DWORD
	v_mul_f16_sdwa v2, v29, v5 dst_sel:DWORD dst_unused:UNUSED_PAD src0_sel:WORD_1 src1_sel:DWORD
	v_fma_f16 v1, v29, v5, v1
	v_fma_f16 v0, v29, v0, -v2
	v_pack_b32_f16 v0, v1, v0
	ds_write_b32 v41, v0 offset:6912
.LBB0_3:
	s_or_b64 exec, exec, s[8:9]
	s_load_dwordx2 s[8:9], s[4:5], 0x20
	s_load_dwordx2 s[2:3], s[4:5], 0x8
	v_mov_b32_e32 v0, 0
	s_waitcnt lgkmcnt(0)
	s_barrier
	s_waitcnt lgkmcnt(0)
                                        ; implicit-def: $vgpr21
                                        ; implicit-def: $vgpr16
                                        ; implicit-def: $vgpr14
                                        ; implicit-def: $vgpr7
                                        ; implicit-def: $vgpr5
                                        ; implicit-def: $vgpr3
                                        ; implicit-def: $vgpr18
                                        ; implicit-def: $vgpr20
                                        ; implicit-def: $vgpr58
	s_and_saveexec_b64 s[4:5], s[0:1]
	s_cbranch_execz .LBB0_5
; %bb.4:
	v_add_u32_e32 v2, 0x200, v41
	ds_read2_b32 v[19:20], v2 offset0:88 offset1:196
	v_add_u32_e32 v2, 0x600, v41
	v_add_u32_e32 v9, 0x1400, v41
	ds_read2_b32 v[17:18], v2 offset0:48 offset1:156
	v_add_u32_e32 v2, 0x800, v41
	v_add_u32_e32 v4, 0xc00, v41
	;; [unrolled: 1-line block ×3, first 2 shown]
	ds_read2_b32 v[13:14], v9 offset0:16 offset1:124
	v_add_u32_e32 v9, 0x1600, v41
	ds_read2_b32 v[0:1], v41 offset1:108
	ds_read2_b32 v[2:3], v2 offset0:136 offset1:244
	ds_read2_b32 v[4:5], v4 offset0:96 offset1:204
	;; [unrolled: 1-line block ×4, first 2 shown]
	ds_read_b32 v21, v41 offset:6912
	s_waitcnt lgkmcnt(8)
	v_alignbit_b32 v58, v19, v19, 16
.LBB0_5:
	s_or_b64 exec, exec, s[4:5]
	s_waitcnt lgkmcnt(0)
	v_pk_add_f16 v19, v1, v21 neg_lo:[0,1] neg_hi:[0,1]
	s_mov_b32 s27, 0xbbf7
	v_pk_add_f16 v22, v21, v1
	s_movk_i32 s15, 0x2de8
	v_mul_f16_sdwa v31, v19, s27 dst_sel:DWORD dst_unused:UNUSED_PAD src0_sel:WORD_1 src1_sel:DWORD
	s_mov_b32 s11, 0xbbb2
	v_pk_add_f16 v23, v16, v58 op_sel:[1,0] op_sel_hi:[0,1]
	v_pk_add_f16 v24, v58, v16 op_sel:[1,0] op_sel_hi:[0,1] neg_lo:[0,1] neg_hi:[0,1]
	s_mov_b32 s17, 0xb1e1
	v_fma_f16 v9, v22, s15, v31
	s_mov_b32 s16, 0xb461
	v_mul_f16_sdwa v35, v19, s11 dst_sel:DWORD dst_unused:UNUSED_PAD src0_sel:WORD_1 src1_sel:DWORD
	v_lshrrev_b32_e32 v42, 16, v23
	s_mov_b32 s18, 0xbbdd
	v_mul_f16_sdwa v34, v24, s17 dst_sel:DWORD dst_unused:UNUSED_PAD src0_sel:WORD_1 src1_sel:DWORD
	s_movk_i32 s29, 0x3836
	v_add_f16_e32 v9, v9, v0
	v_fma_f16 v10, v22, s16, v35
	v_fma_f16 v11, v42, s18, v34
	s_mov_b32 s19, 0xbacd
	v_mul_f16_sdwa v40, v24, s29 dst_sel:DWORD dst_unused:UNUSED_PAD src0_sel:WORD_1 src1_sel:DWORD
	v_pk_add_f16 v25, v20, v15 neg_lo:[0,1] neg_hi:[0,1]
	s_movk_i32 s28, 0x3bb2
	v_add_f16_e32 v10, v10, v0
	v_add_f16_e32 v9, v11, v9
	v_fma_f16 v11, v42, s19, v40
	v_pk_add_f16 v26, v15, v20
	v_mul_f16_sdwa v38, v25, s28 dst_sel:DWORD dst_unused:UNUSED_PAD src0_sel:WORD_1 src1_sel:DWORD
	s_movk_i32 s20, 0x3964
	s_movk_i32 s14, 0x39e9
	v_add_f16_e32 v10, v11, v10
	v_fma_f16 v11, v26, s16, v38
	v_mul_f16_sdwa v53, v25, s20 dst_sel:DWORD dst_unused:UNUSED_PAD src0_sel:WORD_1 src1_sel:DWORD
	v_pk_add_f16 v27, v17, v14 neg_lo:[0,1] neg_hi:[0,1]
	s_movk_i32 s22, 0x35c8
	s_movk_i32 s10, 0x3b76
	v_add_f16_e32 v9, v11, v9
	v_fma_f16 v11, v26, s14, v53
	v_pk_add_f16 v28, v14, v17
	v_mul_f16_sdwa v52, v27, s22 dst_sel:DWORD dst_unused:UNUSED_PAD src0_sel:WORD_1 src1_sel:DWORD
	s_mov_b32 s30, 0xbb29
	v_add_f16_e32 v10, v11, v10
	v_fma_f16 v11, v28, s10, v52
	s_movk_i32 s21, 0x3722
	v_mul_f16_sdwa v55, v27, s30 dst_sel:DWORD dst_unused:UNUSED_PAD src0_sel:WORD_1 src1_sel:DWORD
	v_pk_add_f16 v29, v18, v13 neg_lo:[0,1] neg_hi:[0,1]
	v_add_f16_e32 v9, v11, v9
	v_fma_f16 v11, v28, s21, v55
	v_pk_add_f16 v30, v13, v18
	v_mul_f16_sdwa v54, v29, s30 dst_sel:DWORD dst_unused:UNUSED_PAD src0_sel:WORD_1 src1_sel:DWORD
	v_add_f16_e32 v10, v11, v10
	v_fma_f16 v11, v30, s21, v54
	v_mul_f16_sdwa v57, v29, s17 dst_sel:DWORD dst_unused:UNUSED_PAD src0_sel:WORD_1 src1_sel:DWORD
	s_mov_b32 s24, 0xb836
	v_pk_add_f16 v32, v2, v7 neg_lo:[0,1] neg_hi:[0,1]
	v_add_f16_e32 v9, v11, v9
	v_fma_f16 v11, v30, s18, v57
	v_pk_add_f16 v33, v7, v2
	v_mul_f16_sdwa v56, v32, s24 dst_sel:DWORD dst_unused:UNUSED_PAD src0_sel:WORD_1 src1_sel:DWORD
	s_movk_i32 s23, 0x3bf7
	v_add_f16_e32 v10, v11, v10
	v_fma_f16 v11, v33, s19, v56
	v_mul_f16_sdwa v62, v32, s23 dst_sel:DWORD dst_unused:UNUSED_PAD src0_sel:WORD_1 src1_sel:DWORD
	s_movk_i32 s34, 0x3a62
	v_pk_add_f16 v36, v3, v6 neg_lo:[0,1] neg_hi:[0,1]
	v_add_f16_e32 v9, v11, v9
	v_fma_f16 v11, v33, s15, v62
	s_mov_b32 s25, 0xb8d2
	v_pk_add_f16 v39, v6, v3
	v_mul_f16_sdwa v60, v36, s34 dst_sel:DWORD dst_unused:UNUSED_PAD src0_sel:WORD_1 src1_sel:DWORD
	s_mov_b32 s31, 0xb5c8
	v_add_f16_e32 v10, v11, v10
	v_fma_f16 v11, v39, s25, v60
	v_mul_f16_sdwa v66, v36, s31 dst_sel:DWORD dst_unused:UNUSED_PAD src0_sel:WORD_1 src1_sel:DWORD
	v_pk_add_f16 v37, v4, v5 neg_lo:[0,1] neg_hi:[0,1]
	v_add_f16_e32 v9, v11, v9
	v_fma_f16 v11, v39, s10, v66
	s_mov_b32 s26, 0xba62
	v_pk_add_f16 v44, v5, v4
	v_mul_f16_sdwa v67, v37, s20 dst_sel:DWORD dst_unused:UNUSED_PAD src0_sel:WORD_1 src1_sel:DWORD
	v_add_f16_e32 v11, v11, v10
	v_fma_f16 v10, v44, s14, v67
	v_mul_f16_sdwa v78, v37, s26 dst_sel:DWORD dst_unused:UNUSED_PAD src0_sel:WORD_1 src1_sel:DWORD
	v_add_f16_e32 v10, v10, v9
	v_fma_f16 v9, v44, s25, v78
	v_mul_f16_sdwa v59, v19, s31 dst_sel:DWORD dst_unused:UNUSED_PAD src0_sel:WORD_1 src1_sel:DWORD
	s_mov_b32 s35, 0xb964
	v_add_f16_e32 v9, v9, v11
	v_fma_f16 v11, v22, s10, v59
	v_mul_f16_sdwa v61, v24, s35 dst_sel:DWORD dst_unused:UNUSED_PAD src0_sel:WORD_1 src1_sel:DWORD
	v_add_f16_e32 v11, v11, v0
	v_fma_f16 v12, v42, s14, v61
	v_lshrrev_b32_e32 v126, 16, v22
	v_mul_f16_e32 v63, 0xb964, v19
	v_add_f16_e32 v11, v12, v11
	v_fma_f16 v12, v126, s14, -v63
	v_mul_f16_e32 v64, 0xbbf7, v24
	v_add_f16_sdwa v12, v12, v0 dst_sel:DWORD dst_unused:UNUSED_PAD src0_sel:DWORD src1_sel:WORD_1
	v_fma_f16 v45, v23, s15, -v64
	v_mul_f16_sdwa v69, v19, s30 dst_sel:DWORD dst_unused:UNUSED_PAD src0_sel:WORD_1 src1_sel:DWORD
	v_add_f16_e32 v12, v45, v12
	v_fma_f16 v45, v22, s21, v69
	v_mul_f16_sdwa v70, v24, s26 dst_sel:DWORD dst_unused:UNUSED_PAD src0_sel:WORD_1 src1_sel:DWORD
	v_add_f16_e32 v45, v45, v0
	v_fma_f16 v46, v42, s25, v70
	v_mul_f16_e32 v73, 0xbb29, v19
	v_add_f16_e32 v45, v46, v45
	v_fma_f16 v46, v126, s21, -v73
	v_mul_f16_e32 v74, 0xba62, v24
	v_add_f16_sdwa v46, v46, v0 dst_sel:DWORD dst_unused:UNUSED_PAD src0_sel:DWORD src1_sel:WORD_1
	v_fma_f16 v47, v23, s25, -v74
	v_mul_f16_e32 v83, 0xbbf7, v19
	v_add_f16_e32 v46, v47, v46
	v_fma_f16 v47, v126, s15, -v83
	v_mul_f16_e32 v85, 0xb1e1, v24
	v_add_f16_sdwa v47, v47, v0 dst_sel:DWORD dst_unused:UNUSED_PAD src0_sel:DWORD src1_sel:WORD_1
	v_fma_f16 v48, v23, s18, -v85
	;; [unrolled: 6-line block ×3, first 2 shown]
	v_mul_f16_sdwa v65, v25, s30 dst_sel:DWORD dst_unused:UNUSED_PAD src0_sel:WORD_1 src1_sel:DWORD
	v_add_f16_e32 v48, v49, v48
	v_fma_f16 v49, v26, s21, v65
	v_lshrrev_b32_e32 v128, 16, v26
	v_mul_f16_e32 v71, 0xba62, v25
	s_movk_i32 s36, 0x31e1
	v_add_f16_e32 v11, v49, v11
	v_fma_f16 v49, v128, s25, -v71
	v_mul_f16_sdwa v76, v25, s36 dst_sel:DWORD dst_unused:UNUSED_PAD src0_sel:WORD_1 src1_sel:DWORD
	v_add_f16_e32 v12, v49, v12
	v_fma_f16 v49, v26, s18, v76
	v_mul_f16_e32 v81, 0x31e1, v25
	v_add_f16_e32 v45, v49, v45
	v_fma_f16 v49, v128, s18, -v81
	v_mul_f16_e32 v92, 0x3bb2, v25
	v_add_f16_e32 v46, v49, v46
	v_fma_f16 v49, v128, s16, -v92
	v_mul_f16_e32 v105, 0x3964, v25
	v_add_f16_e32 v47, v49, v47
	v_fma_f16 v49, v128, s14, -v105
	v_mul_f16_sdwa v68, v27, s27 dst_sel:DWORD dst_unused:UNUSED_PAD src0_sel:WORD_1 src1_sel:DWORD
	v_add_f16_e32 v48, v49, v48
	v_fma_f16 v49, v28, s15, v68
	v_lshrrev_b32_e32 v129, 16, v28
	v_mul_f16_e32 v75, 0xb1e1, v27
	v_add_f16_e32 v11, v49, v11
	v_fma_f16 v49, v129, s18, -v75
	v_mul_f16_sdwa v80, v27, s28 dst_sel:DWORD dst_unused:UNUSED_PAD src0_sel:WORD_1 src1_sel:DWORD
	v_add_f16_e32 v12, v49, v12
	v_fma_f16 v49, v28, s16, v80
	v_mul_f16_e32 v87, 0x3bb2, v27
	v_add_f16_e32 v45, v49, v45
	v_fma_f16 v49, v129, s16, -v87
	v_mul_f16_e32 v97, 0x35c8, v27
	v_add_f16_e32 v46, v49, v46
	v_fma_f16 v49, v129, s10, -v97
	v_mul_f16_e32 v110, 0xbb29, v27
	v_add_f16_e32 v47, v49, v47
	v_fma_f16 v49, v129, s21, -v110
	v_mul_f16_sdwa v72, v29, s11 dst_sel:DWORD dst_unused:UNUSED_PAD src0_sel:WORD_1 src1_sel:DWORD
	v_add_f16_e32 v48, v49, v48
	v_fma_f16 v49, v30, s16, v72
	v_lshrrev_b32_e32 v131, 16, v30
	v_mul_f16_e32 v79, 0x3836, v29
	;; [unrolled: 19-line block ×4, first 2 shown]
	v_add_f16_e32 v11, v49, v11
	v_fma_f16 v49, v133, s21, -v89
	v_mul_f16_sdwa v93, v36, s27 dst_sel:DWORD dst_unused:UNUSED_PAD src0_sel:WORD_1 src1_sel:DWORD
	v_add_f16_e32 v49, v49, v12
	v_fma_f16 v12, v39, s15, v93
	v_mul_f16_e32 v103, 0xbbf7, v36
	v_add_f16_e32 v12, v12, v45
	v_fma_f16 v45, v133, s15, -v103
	v_mul_f16_e32 v121, 0x3a62, v36
	v_add_f16_e32 v45, v45, v46
	v_fma_f16 v46, v133, s25, -v121
	v_mul_f16_e32 v125, 0xb5c8, v36
	s_mov_b32 s4, 0x3b7639e9
	v_add_f16_e32 v50, v46, v47
	v_fma_f16 v46, v133, s10, -v125
	v_mul_f16_sdwa v88, v37, s17 dst_sel:DWORD dst_unused:UNUSED_PAD src0_sel:WORD_1 src1_sel:DWORD
	s_mov_b32 s5, 0xb964b5c8
	s_mov_b32 s37, 0xbbf7b964
	v_pk_mul_f16 v112, v22, s4
	v_add_f16_e32 v51, v46, v48
	v_fma_f16 v46, v44, s18, v88
	s_mov_b32 s33, 0x2de839e9
	s_mov_b32 s38, 0x3722b8d2
	v_pk_fma_f16 v98, v19, s5, v112 op_sel:[0,0,1] op_sel_hi:[1,1,0]
	v_pk_mul_f16 v113, v24, s37
	v_add_f16_e32 v46, v46, v11
	s_mov_b32 s39, 0xba62bb29
	s_mov_b32 s40, 0x2de8bbdd
	v_pk_fma_f16 v99, v23, s33, v113
	v_add_f16_sdwa v11, v98, v0 dst_sel:DWORD dst_unused:UNUSED_PAD src0_sel:WORD_1 src1_sel:DWORD
	v_pk_mul_f16 v114, v26, s38
	s_mov_b32 s41, 0xb1e1bbf7
	s_mov_b32 s42, 0xb461bacd
	v_add_f16_sdwa v11, v99, v11 dst_sel:DWORD dst_unused:UNUSED_PAD src0_sel:WORD_1 src1_sel:DWORD
	v_pk_fma_f16 v100, v25, s39, v114 op_sel:[0,0,1] op_sel_hi:[1,1,0]
	v_pk_mul_f16 v115, v28, s40
	s_mov_b32 s43, 0x3836bbb2
	s_mov_b32 s44, 0xb8d2b461
	v_add_f16_sdwa v11, v100, v11 dst_sel:DWORD dst_unused:UNUSED_PAD src0_sel:WORD_1 src1_sel:DWORD
	v_pk_fma_f16 v101, v27, s41, v115 op_sel:[0,0,1] op_sel_hi:[1,1,0]
	;; [unrolled: 5-line block ×4, first 2 shown]
	v_pk_mul_f16 v118, v39, s46
	s_mov_b32 s49, 0x35c8b1e1
	v_add_f16_sdwa v11, v106, v11 dst_sel:DWORD dst_unused:UNUSED_PAD src0_sel:WORD_1 src1_sel:DWORD
	v_pk_fma_f16 v107, v36, s47, v118 op_sel:[0,0,1] op_sel_hi:[1,1,0]
	v_mul_f16_sdwa v119, v37, s24 dst_sel:DWORD dst_unused:UNUSED_PAD src0_sel:WORD_1 src1_sel:DWORD
	v_pk_mul_f16 v120, v44, s48
	v_lshrrev_b32_e32 v134, 16, v44
	v_mul_f16_e32 v124, 0xb836, v37
	v_add_f16_sdwa v47, v107, v11 dst_sel:DWORD dst_unused:UNUSED_PAD src0_sel:WORD_1 src1_sel:DWORD
	v_fma_f16 v11, v44, s19, v119
	v_pk_fma_f16 v108, v37, s49, v120 op_sel:[0,0,1] op_sel_hi:[1,1,0]
	v_mul_f16_e32 v111, 0x35c8, v37
	v_fma_f16 v48, v134, s19, -v124
	v_mul_f16_e32 v127, 0x3964, v37
	v_add_f16_e32 v11, v11, v12
	v_add_f16_sdwa v12, v108, v47 dst_sel:DWORD dst_unused:UNUSED_PAD src0_sel:WORD_1 src1_sel:DWORD
	v_fma_f16 v47, v134, s10, -v111
	v_add_f16_e32 v48, v48, v45
	v_fma_f16 v45, v134, s14, -v127
	v_mul_f16_e32 v130, 0xba62, v37
	v_add_f16_e32 v47, v47, v49
	v_add_f16_e32 v49, v45, v50
	v_fma_f16 v45, v134, s25, -v130
	v_pk_fma_f16 v112, v19, s5, v112 op_sel:[0,0,1] op_sel_hi:[1,1,0] neg_lo:[1,0,0] neg_hi:[1,0,0]
	v_add_f16_e32 v50, v45, v51
	v_pk_fma_f16 v113, v23, s33, v113 neg_lo:[0,0,1] neg_hi:[0,0,1]
	v_add_f16_sdwa v45, v112, v0 dst_sel:DWORD dst_unused:UNUSED_PAD src0_sel:DWORD src1_sel:WORD_1
	v_pk_fma_f16 v114, v25, s39, v114 op_sel:[0,0,1] op_sel_hi:[1,1,0] neg_lo:[1,0,0] neg_hi:[1,0,0]
	v_add_f16_e32 v45, v113, v45
	v_pk_fma_f16 v115, v27, s41, v115 op_sel:[0,0,1] op_sel_hi:[1,1,0] neg_lo:[1,0,0] neg_hi:[1,0,0]
	v_add_f16_e32 v45, v114, v45
	;; [unrolled: 2-line block ×6, first 2 shown]
	s_movk_i32 s33, 0x3b29
	v_add_f16_e32 v51, v120, v45
	v_mul_lo_u16_e32 v45, 17, v43
	s_barrier
	s_and_saveexec_b64 s[4:5], s[0:1]
	s_cbranch_execz .LBB0_7
; %bb.6:
	v_mul_f16_e32 v200, 0xb8d2, v126
	v_fma_f16 v201, v19, s34, v200
	v_mul_f16_e32 v202, 0xb461, v23
	v_add_f16_sdwa v201, v201, v0 dst_sel:DWORD dst_unused:UNUSED_PAD src0_sel:DWORD src1_sel:WORD_1
	v_fma_f16 v203, v24, s11, v202
	v_add_f16_e32 v201, v203, v201
	v_mul_f16_e32 v203, 0x3b76, v128
	v_fma_f16 v204, v25, s22, v203
	v_add_f16_e32 v201, v204, v201
	v_mul_f16_e32 v204, 0xbacd, v129
	;; [unrolled: 3-line block ×6, first 2 shown]
	v_fma_f16 v209, v37, s30, v208
	v_add_f16_e32 v201, v209, v201
	v_mul_f16_sdwa v209, v19, s26 dst_sel:DWORD dst_unused:UNUSED_PAD src0_sel:WORD_1 src1_sel:DWORD
	v_fma_f16 v210, v22, s25, v209
	v_mul_f16_sdwa v211, v24, s28 dst_sel:DWORD dst_unused:UNUSED_PAD src0_sel:WORD_1 src1_sel:DWORD
	v_add_f16_e32 v210, v210, v0
	v_fma_f16 v212, v42, s16, v211
	v_add_f16_e32 v210, v212, v210
	v_mul_f16_sdwa v212, v25, s31 dst_sel:DWORD dst_unused:UNUSED_PAD src0_sel:WORD_1 src1_sel:DWORD
	v_fma_f16 v213, v26, s10, v212
	v_add_f16_e32 v210, v213, v210
	v_mul_f16_sdwa v213, v27, s24 dst_sel:DWORD dst_unused:UNUSED_PAD src0_sel:WORD_1 src1_sel:DWORD
	;; [unrolled: 3-line block ×5, first 2 shown]
	v_fma_f16 v217, v39, s18, v216
	v_mul_f16_e32 v140, 0x2de8, v22
	v_add_f16_e32 v210, v217, v210
	v_mul_f16_sdwa v217, v37, s33 dst_sel:DWORD dst_unused:UNUSED_PAD src0_sel:WORD_1 src1_sel:DWORD
	v_mul_f16_e32 v137, 0x39e9, v126
	v_mul_f16_e32 v139, 0x3722, v126
	;; [unrolled: 1-line block ×5, first 2 shown]
	v_fma_f16 v218, v44, s21, v217
	v_mul_f16_e32 v126, 0xbacd, v126
	v_sub_f16_e32 v31, v140, v31
	v_mul_f16_e32 v156, 0xb461, v26
	v_add_f16_e32 v210, v218, v210
	v_fma_f16 v218, v19, s29, v126
	v_mul_f16_e32 v219, 0x3722, v23
	v_add_f16_e32 v31, v31, v0
	v_sub_f16_e32 v34, v148, v34
	v_mul_f16_e32 v153, 0xb8d2, v128
	v_mul_f16_e32 v155, 0xbbdd, v128
	;; [unrolled: 1-line block ×5, first 2 shown]
	v_add_f16_sdwa v218, v218, v0 dst_sel:DWORD dst_unused:UNUSED_PAD src0_sel:DWORD src1_sel:WORD_1
	v_fma_f16 v220, v24, s30, v219
	v_mul_f16_e32 v128, 0x2de8, v128
	v_add_f16_e32 v31, v34, v31
	v_sub_f16_e32 v34, v156, v38
	v_mul_f16_e32 v161, 0xbbdd, v129
	v_mul_f16_e32 v163, 0xb461, v129
	v_mul_f16_e32 v165, 0x3b76, v129
	v_mul_f16_e32 v167, 0x3722, v129
	v_mul_f16_e32 v172, 0x3722, v30
	v_add_f16_e32 v218, v220, v218
	v_fma_f16 v220, v25, s23, v128
	v_mul_f16_e32 v129, 0xb8d2, v129
	v_add_f16_e32 v31, v34, v31
	v_sub_f16_e32 v34, v164, v52
	v_mul_f16_e32 v169, 0xbacd, v131
	v_mul_f16_e32 v171, 0x39e9, v131
	v_mul_f16_e32 v173, 0x3722, v131
	v_mul_f16_e32 v175, 0xbbdd, v131
	v_mul_f16_e32 v180, 0xbacd, v33
	v_add_f16_e32 v218, v220, v218
	;; [unrolled: 10-line block ×4, first 2 shown]
	v_fma_f16 v220, v32, s36, v132
	v_mul_f16_e32 v133, 0x39e9, v133
	v_add_f16_e32 v31, v34, v31
	v_sub_f16_e32 v34, v188, v60
	v_mul_f16_e32 v193, 0x3b76, v134
	v_mul_f16_e32 v195, 0xbacd, v134
	;; [unrolled: 1-line block ×4, first 2 shown]
	v_add_f16_e32 v218, v220, v218
	v_fma_f16 v220, v36, s35, v133
	v_mul_f16_e32 v134, 0xb461, v134
	v_add_f16_e32 v31, v34, v31
	v_sub_f16_e32 v34, v196, v67
	v_mul_f16_e32 v142, 0xb461, v22
	v_mul_f16_e32 v147, 0xb8d2, v23
	v_add_f16_e32 v218, v220, v218
	v_fma_f16 v220, v37, s28, v134
	v_fma_f16 v126, v19, s24, v126
	v_add_f16_e32 v31, v34, v31
	v_add_f16_e32 v34, v73, v139
	v_mul_f16_e32 v150, 0xbacd, v42
	v_add_f16_e32 v218, v220, v218
	v_mul_f16_sdwa v220, v19, s24 dst_sel:DWORD dst_unused:UNUSED_PAD src0_sel:WORD_1 src1_sel:DWORD
	v_add_f16_sdwa v126, v126, v0 dst_sel:DWORD dst_unused:UNUSED_PAD src0_sel:DWORD src1_sel:WORD_1
	v_fma_f16 v219, v24, s33, v219
	v_sub_f16_e32 v35, v142, v35
	v_add_f16_sdwa v34, v34, v0 dst_sel:DWORD dst_unused:UNUSED_PAD src0_sel:DWORD src1_sel:WORD_1
	v_add_f16_e32 v38, v74, v147
	v_mul_f16_e32 v158, 0x39e9, v26
	v_fma_f16 v221, v22, s19, v220
	v_mul_f16_sdwa v222, v24, s33 dst_sel:DWORD dst_unused:UNUSED_PAD src0_sel:WORD_1 src1_sel:DWORD
	v_add_f16_e32 v126, v219, v126
	v_fma_f16 v128, v25, s27, v128
	v_add_f16_e32 v35, v35, v0
	v_sub_f16_e32 v40, v150, v40
	v_add_f16_e32 v34, v38, v34
	v_add_f16_e32 v38, v81, v155
	v_mul_f16_e32 v166, 0x3722, v28
	v_add_f16_e32 v221, v221, v0
	v_fma_f16 v223, v42, s21, v222
	v_add_f16_e32 v126, v128, v126
	v_fma_f16 v128, v27, s34, v129
	v_add_f16_e32 v35, v40, v35
	v_sub_f16_e32 v40, v158, v53
	v_add_f16_e32 v34, v38, v34
	v_add_f16_e32 v38, v87, v163
	v_mul_f16_e32 v174, 0xbbdd, v30
	v_add_f16_e32 v221, v223, v221
	v_mul_f16_sdwa v223, v25, s27 dst_sel:DWORD dst_unused:UNUSED_PAD src0_sel:WORD_1 src1_sel:DWORD
	v_add_f16_e32 v126, v128, v126
	v_fma_f16 v128, v29, s31, v131
	v_add_f16_e32 v35, v40, v35
	v_sub_f16_e32 v40, v166, v55
	v_add_f16_e32 v34, v38, v34
	v_add_f16_e32 v38, v91, v171
	v_mul_f16_e32 v182, 0x2de8, v33
	v_fma_f16 v224, v26, s15, v223
	v_add_f16_e32 v126, v128, v126
	v_fma_f16 v128, v32, s17, v132
	v_add_f16_e32 v35, v40, v35
	v_sub_f16_e32 v40, v174, v57
	v_add_f16_e32 v34, v38, v34
	v_add_f16_e32 v38, v95, v179
	v_mul_f16_e32 v190, 0x3b76, v39
	v_add_f16_e32 v221, v224, v221
	v_mul_f16_sdwa v224, v27, s34 dst_sel:DWORD dst_unused:UNUSED_PAD src0_sel:WORD_1 src1_sel:DWORD
	v_add_f16_e32 v126, v128, v126
	v_fma_f16 v128, v36, s20, v133
	v_add_f16_e32 v35, v40, v35
	v_sub_f16_e32 v40, v182, v62
	v_add_f16_e32 v34, v38, v34
	v_add_f16_e32 v38, v103, v187
	v_mul_f16_e32 v138, 0x3722, v22
	v_mul_f16_e32 v198, 0xb8d2, v44
	v_fma_f16 v225, v28, s25, v224
	v_add_f16_e32 v126, v128, v126
	v_fma_f16 v128, v37, s11, v134
	v_add_f16_e32 v35, v40, v35
	v_sub_f16_e32 v40, v190, v66
	v_add_f16_e32 v34, v38, v34
	v_add_f16_e32 v38, v124, v195
	v_mul_f16_e32 v146, 0xb8d2, v42
	v_add_f16_e32 v221, v225, v221
	v_mul_f16_sdwa v225, v29, s31 dst_sel:DWORD dst_unused:UNUSED_PAD src0_sel:WORD_1 src1_sel:DWORD
	v_add_f16_e32 v126, v128, v126
	v_fma_f16 v128, v22, s19, -v220
	v_add_f16_e32 v35, v40, v35
	v_sub_f16_e32 v40, v198, v78
	v_add_f16_e32 v34, v38, v34
	v_sub_f16_e32 v38, v138, v69
	v_mul_f16_e32 v149, 0xbbdd, v23
	v_mul_f16_e32 v154, 0xbbdd, v26
	v_fma_f16 v226, v30, s10, v225
	v_add_f16_e32 v128, v128, v0
	v_fma_f16 v129, v42, s21, -v222
	v_add_f16_e32 v35, v40, v35
	v_add_f16_e32 v40, v83, v141
	v_add_f16_e32 v38, v38, v0
	v_sub_f16_e32 v52, v146, v70
	v_mul_f16_e32 v162, 0xb461, v28
	v_add_f16_e32 v221, v226, v221
	v_mul_f16_sdwa v226, v32, s17 dst_sel:DWORD dst_unused:UNUSED_PAD src0_sel:WORD_1 src1_sel:DWORD
	v_add_f16_e32 v128, v129, v128
	v_fma_f16 v129, v26, s15, -v223
	v_add_f16_sdwa v40, v40, v0 dst_sel:DWORD dst_unused:UNUSED_PAD src0_sel:DWORD src1_sel:WORD_1
	v_add_f16_e32 v53, v85, v149
	v_add_f16_e32 v38, v52, v38
	v_sub_f16_e32 v52, v154, v76
	v_mul_f16_e32 v170, 0x39e9, v30
	v_fma_f16 v227, v33, s18, v226
	v_add_f16_e32 v128, v129, v128
	v_fma_f16 v129, v28, s25, -v224
	v_add_f16_e32 v40, v53, v40
	v_add_f16_e32 v53, v92, v157
	;; [unrolled: 1-line block ×3, first 2 shown]
	v_sub_f16_e32 v52, v162, v80
	v_mul_f16_e32 v178, 0x3b76, v33
	v_add_f16_e32 v221, v227, v221
	v_mul_f16_sdwa v227, v36, s20 dst_sel:DWORD dst_unused:UNUSED_PAD src0_sel:WORD_1 src1_sel:DWORD
	v_add_f16_e32 v128, v129, v128
	v_fma_f16 v129, v30, s10, -v225
	v_add_f16_e32 v40, v53, v40
	v_add_f16_e32 v53, v97, v165
	;; [unrolled: 1-line block ×3, first 2 shown]
	v_sub_f16_e32 v52, v170, v86
	v_mul_f16_e32 v186, 0x2de8, v39
	v_fma_f16 v228, v39, s14, v227
	v_add_f16_e32 v128, v129, v128
	v_fma_f16 v129, v33, s18, -v226
	v_add_f16_e32 v40, v53, v40
	v_add_f16_e32 v53, v104, v173
	;; [unrolled: 1-line block ×3, first 2 shown]
	v_sub_f16_e32 v52, v178, v90
	v_mul_f16_e32 v194, 0xbacd, v44
	v_add_f16_e32 v221, v228, v221
	v_mul_f16_sdwa v228, v37, s11 dst_sel:DWORD dst_unused:UNUSED_PAD src0_sel:WORD_1 src1_sel:DWORD
	v_add_f16_e32 v128, v129, v128
	v_fma_f16 v129, v39, s14, -v227
	v_add_f16_e32 v40, v53, v40
	v_add_f16_e32 v53, v109, v181
	;; [unrolled: 1-line block ×3, first 2 shown]
	v_sub_f16_e32 v52, v186, v93
	v_add_f16_e32 v128, v129, v128
	v_fma_f16 v129, v44, s16, -v228
	v_add_f16_e32 v40, v53, v40
	v_add_f16_e32 v53, v121, v189
	;; [unrolled: 1-line block ×3, first 2 shown]
	v_sub_f16_e32 v52, v194, v119
	v_mul_f16_e32 v145, 0x2de8, v23
	v_add_f16_e32 v128, v129, v128
	v_fma_f16 v129, v19, s26, v200
	v_add_f16_e32 v40, v53, v40
	v_add_f16_e32 v53, v127, v197
	;; [unrolled: 1-line block ×4, first 2 shown]
	v_add_f16_sdwa v129, v129, v0 dst_sel:DWORD dst_unused:UNUSED_PAD src0_sel:DWORD src1_sel:WORD_1
	v_fma_f16 v131, v24, s28, v202
	v_add_f16_e32 v40, v53, v40
	v_add_f16_sdwa v52, v52, v0 dst_sel:DWORD dst_unused:UNUSED_PAD src0_sel:DWORD src1_sel:WORD_1
	v_add_f16_e32 v53, v64, v145
	v_add_f16_e32 v129, v131, v129
	v_fma_f16 v131, v25, s31, v203
	v_add_f16_e32 v52, v53, v52
	v_add_f16_e32 v53, v71, v153
	v_alignbit_b32 v135, v0, v0, 16
	v_add_f16_e32 v129, v131, v129
	v_fma_f16 v131, v27, s24, v204
	v_add_f16_e32 v52, v53, v52
	v_add_f16_e32 v53, v75, v161
	v_alignbit_b32 v58, v58, v58, 16
	v_add_f16_e32 v129, v131, v129
	v_fma_f16 v131, v29, s23, v205
	v_add_f16_e32 v52, v53, v52
	v_add_f16_e32 v53, v79, v169
	v_pk_add_f16 v1, v1, v135 op_sel:[0,1] op_sel_hi:[1,0]
	v_add_f16_e32 v129, v131, v129
	v_fma_f16 v131, v32, s35, v206
	v_add_f16_e32 v52, v53, v52
	v_add_f16_e32 v53, v84, v177
	v_pk_add_f16 v1, v58, v1
	v_add_f16_e32 v129, v131, v129
	v_fma_f16 v131, v36, s17, v207
	v_add_f16_e32 v52, v53, v52
	v_add_f16_e32 v53, v89, v185
	v_pk_add_f16 v1, v20, v1
	v_mul_f16_e32 v136, 0x3b76, v22
	v_add_f16_e32 v129, v131, v129
	v_fma_f16 v131, v37, s33, v208
	v_add_f16_e32 v52, v53, v52
	v_add_f16_e32 v53, v111, v193
	s_mov_b32 s27, 0xffff
	v_pk_add_f16 v1, v17, v1
	v_mul_f16_e32 v144, 0x39e9, v42
	v_add_f16_e32 v129, v131, v129
	v_fma_f16 v131, v22, s25, -v209
	v_add_f16_e32 v94, v94, v143
	v_add_f16_e32 v52, v53, v52
	v_bfi_b32 v53, s27, v98, v112
	v_sub_f16_e32 v59, v136, v59
	v_pk_add_f16 v1, v18, v1
	v_mul_f16_e32 v152, 0x3722, v26
	v_add_f16_e32 v131, v131, v0
	v_add_f16_sdwa v94, v94, v0 dst_sel:DWORD dst_unused:UNUSED_PAD src0_sel:DWORD src1_sel:WORD_1
	v_bfi_b32 v54, s27, v99, v113
	v_add_f16_e32 v0, v59, v0
	v_sub_f16_e32 v59, v144, v61
	v_pk_add_f16 v1, v2, v1
	v_pk_add_f16 v2, v53, v135
	v_mul_f16_e32 v151, 0xbacd, v23
	v_mul_f16_e32 v160, 0x2de8, v28
	v_bfi_b32 v55, s27, v100, v114
	v_add_f16_e32 v0, v59, v0
	v_sub_f16_e32 v59, v152, v65
	v_pk_add_f16 v2, v54, v2
	v_mul_f16_e32 v168, 0xb461, v30
	v_fma_f16 v42, v42, s16, -v211
	v_add_f16_e32 v96, v96, v151
	v_bfi_b32 v56, s27, v101, v115
	v_add_f16_e32 v0, v59, v0
	v_sub_f16_e32 v59, v160, v68
	v_pk_add_f16 v1, v3, v1
	v_pk_add_f16 v2, v55, v2
	v_mul_f16_e32 v176, 0xb8d2, v33
	v_add_f16_e32 v42, v42, v131
	v_fma_f16 v131, v26, s10, -v212
	v_add_f16_e32 v94, v96, v94
	v_add_f16_e32 v96, v105, v159
	v_bfi_b32 v57, s27, v102, v116
	v_add_f16_e32 v0, v59, v0
	v_sub_f16_e32 v59, v168, v72
	v_pk_add_f16 v1, v4, v1
	v_pk_add_f16 v2, v56, v2
	v_mul_f16_e32 v184, 0xbacd, v39
	v_add_f16_e32 v42, v131, v42
	v_fma_f16 v131, v28, s19, -v213
	v_add_f16_e32 v94, v96, v94
	;; [unrolled: 10-line block ×3, first 2 shown]
	v_add_f16_e32 v96, v122, v175
	v_bfi_b32 v62, s27, v107, v118
	v_add_f16_e32 v0, v59, v0
	v_sub_f16_e32 v59, v184, v82
	v_pk_add_f16 v1, v6, v1
	v_pk_add_f16 v2, v60, v2
	v_add_f16_e32 v42, v131, v42
	v_fma_f16 v131, v33, s14, -v215
	v_add_f16_e32 v94, v96, v94
	v_add_f16_e32 v96, v123, v183
	v_bfi_b32 v63, s27, v108, v120
	v_add_f16_e32 v0, v59, v0
	v_sub_f16_e32 v59, v192, v88
	v_pk_add_f16 v1, v7, v1
	v_pk_add_f16 v2, v62, v2
	v_add_f16_e32 v42, v131, v42
	v_fma_f16 v131, v39, s18, -v216
	v_add_f16_e32 v94, v96, v94
	v_add_f16_e32 v96, v125, v191
	;; [unrolled: 1-line block ×3, first 2 shown]
	v_pk_add_f16 v1, v13, v1
	v_pk_add_f16 v2, v63, v2
	v_add_f16_e32 v42, v131, v42
	v_fma_f16 v131, v44, s21, -v217
	v_add_f16_e32 v94, v96, v94
	v_add_f16_e32 v96, v130, v199
	v_lshlrev_b32_e32 v17, 2, v45
	v_pk_add_f16 v1, v14, v1
	v_alignbit_b32 v3, v52, v2, 16
	v_pack_b32_f16 v0, v0, v2
	v_add_f16_e32 v42, v131, v42
	v_add_f16_e32 v94, v96, v94
	v_pk_add_f16 v1, v15, v1
	ds_write2_b32 v17, v0, v3 offset0:1 offset1:2
	v_pack_b32_f16 v0, v31, v40
	v_pack_b32_f16 v2, v38, v34
	v_pk_add_f16 v1, v16, v1
	ds_write2_b32 v17, v2, v0 offset0:3 offset1:4
	v_pack_b32_f16 v0, v35, v94
	v_pack_b32_f16 v2, v42, v129
	v_pk_add_f16 v1, v21, v1
	ds_write2_b32 v17, v0, v2 offset0:5 offset1:6
	v_pack_b32_f16 v0, v128, v126
	ds_write2_b32 v17, v1, v0 offset1:7
	v_pk_mul_f16 v0, v22, s18 op_sel_hi:[1,0]
	v_pk_fma_f16 v1, v19, s17, v0 op_sel:[0,0,1] op_sel_hi:[1,0,0] neg_lo:[1,0,0] neg_hi:[1,0,0]
	v_pk_mul_f16 v2, v24, s22 op_sel_hi:[1,0]
	v_pk_add_f16 v1, v1, v135
	v_pk_fma_f16 v3, v23, s10, v2 op_sel_hi:[1,0,1] neg_lo:[0,0,1] neg_hi:[0,0,1]
	v_pk_add_f16 v1, v3, v1
	v_pk_mul_f16 v3, v26, s19 op_sel_hi:[1,0]
	v_pk_fma_f16 v4, v25, s24, v3 op_sel:[0,0,1] op_sel_hi:[1,0,0] neg_lo:[1,0,0] neg_hi:[1,0,0]
	v_pk_add_f16 v1, v4, v1
	v_pk_mul_f16 v4, v28, s14 op_sel_hi:[1,0]
	v_pk_fma_f16 v5, v27, s20, v4 op_sel:[0,0,1] op_sel_hi:[1,0,0] neg_lo:[1,0,0] neg_hi:[1,0,0]
	v_pk_add_f16 v1, v5, v1
	v_pk_mul_f16 v5, v30, s25 op_sel_hi:[1,0]
	v_pk_fma_f16 v0, v19, s17, v0 op_sel:[0,0,1] op_sel_hi:[1,0,0]
	v_pk_fma_f16 v6, v29, s26, v5 op_sel:[0,0,1] op_sel_hi:[1,0,0] neg_lo:[1,0,0] neg_hi:[1,0,0]
	v_pk_add_f16 v0, v0, v135
	v_pk_fma_f16 v2, v23, s10, v2 op_sel_hi:[1,0,1]
	v_pk_add_f16 v1, v6, v1
	v_pk_mul_f16 v6, v33, s21 op_sel_hi:[1,0]
	v_pk_add_f16 v0, v2, v0
	v_pk_fma_f16 v2, v25, s24, v3 op_sel:[0,0,1] op_sel_hi:[1,0,0]
	v_pk_fma_f16 v7, v32, s33, v6 op_sel:[0,0,1] op_sel_hi:[1,0,0] neg_lo:[1,0,0] neg_hi:[1,0,0]
	v_pk_add_f16 v0, v2, v0
	v_pk_fma_f16 v2, v27, s20, v4 op_sel:[0,0,1] op_sel_hi:[1,0,0]
	v_pk_add_f16 v1, v7, v1
	v_pk_mul_f16 v7, v39, s16 op_sel_hi:[1,0]
	v_pk_add_f16 v0, v2, v0
	v_pk_fma_f16 v2, v29, s26, v5 op_sel:[0,0,1] op_sel_hi:[1,0,0]
	v_pk_fma_f16 v13, v36, s11, v7 op_sel:[0,0,1] op_sel_hi:[1,0,0] neg_lo:[1,0,0] neg_hi:[1,0,0]
	v_pk_add_f16 v0, v2, v0
	v_pk_fma_f16 v2, v32, s33, v6 op_sel:[0,0,1] op_sel_hi:[1,0,0]
	;; [unrolled: 7-line block ×3, first 2 shown]
	v_fma_f16 v229, v44, s16, v228
	v_pk_add_f16 v1, v14, v1
	v_pk_add_f16 v0, v2, v0
	v_add_f16_e32 v221, v229, v221
	v_alignbit_b32 v2, v1, v0, 16
	v_alignbit_b32 v0, v0, v1, 16
	ds_write2_b32 v17, v0, v2 offset0:8 offset1:9
	v_pack_b32_f16 v0, v210, v201
	v_pack_b32_f16 v1, v221, v218
	s_mov_b32 s10, 0x5040100
	ds_write2_b32 v17, v1, v0 offset0:10 offset1:11
	v_perm_b32 v0, v49, v10, s10
	v_perm_b32 v1, v50, v9, s10
	ds_write2_b32 v17, v1, v0 offset0:12 offset1:13
	v_perm_b32 v0, v47, v12, s10
	v_perm_b32 v1, v48, v11, s10
	ds_write2_b32 v17, v1, v0 offset0:14 offset1:15
	v_perm_b32 v0, v51, v46, s10
	ds_write_b32 v17, v0 offset:64
.LBB0_7:
	s_or_b64 exec, exec, s[4:5]
	s_movk_i32 s14, 0x99
	s_movk_i32 s4, 0xf1
	v_add_co_u32_e32 v25, vcc, s14, v43
	v_mul_lo_u16_sdwa v0, v43, s4 dst_sel:DWORD dst_unused:UNUSED_PAD src0_sel:BYTE_0 src1_sel:DWORD
	s_mov_b32 s4, 0xf0f1
	v_lshrrev_b16_e32 v26, 12, v0
	v_mul_u32_u24_sdwa v1, v25, s4 dst_sel:DWORD dst_unused:UNUSED_PAD src0_sel:WORD_0 src1_sel:DWORD
	v_mul_lo_u16_e32 v0, 17, v26
	v_lshrrev_b32_e32 v28, 20, v1
	v_sub_u16_e32 v0, v43, v0
	v_mul_lo_u16_e32 v1, 17, v28
	v_and_b32_e32 v27, 0xff, v0
	v_sub_u16_e32 v29, v25, v1
	v_add_u32_e32 v33, 0x132, v43
	v_lshlrev_b32_e32 v0, 3, v27
	v_lshlrev_b16_e32 v1, 1, v29
	s_load_dwordx4 s[8:11], s[8:9], 0x0
	s_waitcnt lgkmcnt(0)
	s_barrier
	global_load_dwordx2 v[13:14], v0, s[2:3]
	v_lshlrev_b32_e32 v0, 2, v1
	v_mul_u32_u24_sdwa v1, v33, s4 dst_sel:DWORD dst_unused:UNUSED_PAD src0_sel:WORD_0 src1_sel:DWORD
	v_lshrrev_b32_e32 v30, 20, v1
	v_mul_lo_u16_e32 v1, 17, v30
	v_sub_u16_e32 v31, v33, v1
	v_lshlrev_b16_e32 v1, 1, v31
	v_add_u32_e32 v34, 0x1cb, v43
	v_lshlrev_b32_e32 v1, 2, v1
	global_load_dwordx2 v[15:16], v0, s[2:3]
	global_load_dwordx2 v[19:20], v1, s[2:3]
	v_mul_u32_u24_sdwa v0, v34, s4 dst_sel:DWORD dst_unused:UNUSED_PAD src0_sel:WORD_0 src1_sel:DWORD
	v_lshrrev_b32_e32 v32, 20, v0
	v_mul_lo_u16_e32 v0, 17, v32
	v_sub_u16_e32 v35, v34, v0
	v_lshlrev_b16_e32 v0, 1, v35
	v_lshlrev_b32_e32 v0, 2, v0
	global_load_dwordx2 v[17:18], v0, s[2:3]
	v_mov_b32_e32 v0, 2
	v_lshlrev_b32_sdwa v44, v0, v43 dst_sel:DWORD dst_unused:UNUSED_PAD src0_sel:DWORD src1_sel:WORD_0
	v_add_u32_e32 v85, 0x800, v44
	ds_read2_b32 v[0:1], v44 offset1:153
	v_add_u32_e32 v83, 0x1200, v44
	v_add_u32_e32 v87, 0x400, v44
	;; [unrolled: 1-line block ×4, first 2 shown]
	ds_read2_b32 v[2:3], v85 offset0:100 offset1:253
	ds_read2_b32 v[4:5], v83 offset0:72 offset1:225
	;; [unrolled: 1-line block ×5, first 2 shown]
	s_waitcnt lgkmcnt(4)
	v_lshrrev_b32_e32 v38, 16, v2
	v_lshrrev_b32_e32 v40, 16, v3
	s_waitcnt lgkmcnt(3)
	v_lshrrev_b32_e32 v39, 16, v4
	s_waitcnt lgkmcnt(1)
	;; [unrolled: 2-line block ×3, first 2 shown]
	v_lshrrev_b32_e32 v57, 16, v24
	v_lshrrev_b32_e32 v42, 16, v5
	;; [unrolled: 1-line block ×3, first 2 shown]
	s_movk_i32 s5, 0x3aee
	s_mov_b32 s4, 0xbaee
	v_lshrrev_b32_e32 v53, 16, v21
	v_lshrrev_b32_e32 v54, 16, v23
	;; [unrolled: 1-line block ×5, first 2 shown]
	s_waitcnt vmcnt(0)
	s_barrier
	s_movk_i32 s15, 0xa1
	v_mul_f16_sdwa v58, v38, v13 dst_sel:DWORD dst_unused:UNUSED_PAD src0_sel:DWORD src1_sel:WORD_1
	v_mul_f16_sdwa v59, v2, v13 dst_sel:DWORD dst_unused:UNUSED_PAD src0_sel:DWORD src1_sel:WORD_1
	v_fma_f16 v2, v2, v13, -v58
	v_mul_f16_sdwa v60, v39, v14 dst_sel:DWORD dst_unused:UNUSED_PAD src0_sel:DWORD src1_sel:WORD_1
	v_fma_f16 v38, v38, v13, v59
	v_mul_f16_sdwa v61, v4, v14 dst_sel:DWORD dst_unused:UNUSED_PAD src0_sel:DWORD src1_sel:WORD_1
	v_fma_f16 v4, v4, v14, -v60
	v_fma_f16 v39, v39, v14, v61
	v_mul_f16_sdwa v58, v40, v15 dst_sel:DWORD dst_unused:UNUSED_PAD src0_sel:DWORD src1_sel:WORD_1
	v_mul_f16_sdwa v59, v3, v15 dst_sel:DWORD dst_unused:UNUSED_PAD src0_sel:DWORD src1_sel:WORD_1
	v_fma_f16 v3, v3, v15, -v58
	v_fma_f16 v40, v40, v15, v59
	v_add_f16_e32 v59, v2, v4
	v_mul_f16_sdwa v60, v42, v16 dst_sel:DWORD dst_unused:UNUSED_PAD src0_sel:DWORD src1_sel:WORD_1
	v_mul_f16_sdwa v61, v5, v16 dst_sel:DWORD dst_unused:UNUSED_PAD src0_sel:DWORD src1_sel:WORD_1
	v_fma_f16 v5, v5, v16, -v60
	v_mul_f16_sdwa v66, v56, v17 dst_sel:DWORD dst_unused:UNUSED_PAD src0_sel:DWORD src1_sel:WORD_1
	v_fma_f16 v58, v22, v17, -v66
	v_mul_f16_sdwa v22, v22, v17 dst_sel:DWORD dst_unused:UNUSED_PAD src0_sel:DWORD src1_sel:WORD_1
	v_fma_f16 v22, v56, v17, v22
	v_mul_f16_sdwa v56, v57, v18 dst_sel:DWORD dst_unused:UNUSED_PAD src0_sel:DWORD src1_sel:WORD_1
	v_fma_f16 v56, v24, v18, -v56
	v_mul_f16_sdwa v24, v24, v18 dst_sel:DWORD dst_unused:UNUSED_PAD src0_sel:DWORD src1_sel:WORD_1
	v_fma_f16 v24, v57, v18, v24
	v_add_f16_e32 v57, v0, v2
	v_fma_f16 v0, v59, -0.5, v0
	v_sub_f16_e32 v59, v38, v39
	v_fma_f16 v60, v59, s5, v0
	v_fma_f16 v0, v59, s4, v0
	v_add_f16_e32 v59, v36, v38
	v_add_f16_e32 v38, v38, v39
	v_fma_f16 v42, v42, v16, v61
	v_fma_f16 v36, v38, -0.5, v36
	v_sub_f16_e32 v2, v2, v4
	v_add_f16_e32 v38, v3, v5
	v_mul_f16_sdwa v62, v53, v19 dst_sel:DWORD dst_unused:UNUSED_PAD src0_sel:DWORD src1_sel:WORD_1
	v_mul_f16_sdwa v64, v54, v20 dst_sel:DWORD dst_unused:UNUSED_PAD src0_sel:DWORD src1_sel:WORD_1
	v_add_f16_e32 v57, v57, v4
	v_fma_f16 v4, v2, s4, v36
	v_fma_f16 v2, v2, s5, v36
	v_add_f16_e32 v36, v1, v3
	v_fma_f16 v1, v38, -0.5, v1
	v_sub_f16_e32 v38, v40, v42
	v_mul_f16_sdwa v63, v21, v19 dst_sel:DWORD dst_unused:UNUSED_PAD src0_sel:DWORD src1_sel:WORD_1
	v_mul_f16_sdwa v65, v23, v20 dst_sel:DWORD dst_unused:UNUSED_PAD src0_sel:DWORD src1_sel:WORD_1
	v_fma_f16 v21, v21, v19, -v62
	v_fma_f16 v23, v23, v20, -v64
	v_add_f16_e32 v59, v59, v39
	v_fma_f16 v39, v38, s5, v1
	v_fma_f16 v1, v38, s4, v1
	v_add_f16_e32 v38, v37, v40
	v_add_f16_e32 v40, v40, v42
	v_fma_f16 v53, v53, v19, v63
	v_fma_f16 v54, v54, v20, v65
	v_fma_f16 v37, v40, -0.5, v37
	v_sub_f16_e32 v3, v3, v5
	v_add_f16_e32 v40, v21, v23
	v_add_f16_e32 v36, v36, v5
	v_fma_f16 v5, v3, s4, v37
	v_fma_f16 v3, v3, s5, v37
	v_add_f16_e32 v37, v6, v21
	v_fma_f16 v6, v40, -0.5, v6
	v_sub_f16_e32 v40, v53, v54
	v_add_f16_e32 v38, v38, v42
	v_fma_f16 v42, v40, s5, v6
	v_fma_f16 v6, v40, s4, v6
	v_add_f16_e32 v40, v52, v53
	v_add_f16_e32 v53, v53, v54
	v_fma_f16 v52, v53, -0.5, v52
	v_sub_f16_e32 v21, v21, v23
	v_add_f16_e32 v37, v37, v23
	v_fma_f16 v23, v21, s4, v52
	v_fma_f16 v21, v21, s5, v52
	v_add_f16_e32 v52, v7, v58
	v_add_f16_e32 v61, v52, v56
	;; [unrolled: 1-line block ×3, first 2 shown]
	v_fma_f16 v7, v52, -0.5, v7
	v_sub_f16_e32 v52, v22, v24
	v_fma_f16 v62, v52, s5, v7
	v_fma_f16 v7, v52, s4, v7
	v_add_f16_e32 v52, v55, v22
	v_add_f16_e32 v22, v22, v24
	;; [unrolled: 1-line block ×3, first 2 shown]
	v_fma_f16 v22, v22, -0.5, v55
	v_sub_f16_e32 v24, v58, v56
	v_fma_f16 v56, v24, s4, v22
	v_fma_f16 v22, v24, s5, v22
	v_mul_u32_u24_e32 v24, 51, v26
	v_add_lshl_u32 v52, v24, v27, 2
	v_pack_b32_f16 v0, v0, v2
	ds_write_b32 v52, v0 offset:136
	v_mad_legacy_u16 v0, v28, 51, v29
	v_pack_b32_f16 v24, v57, v59
	v_pack_b32_f16 v4, v60, v4
	v_lshlrev_b32_e32 v53, 2, v0
	v_pack_b32_f16 v0, v36, v38
	v_pack_b32_f16 v2, v39, v5
	ds_write2_b32 v52, v24, v4 offset1:17
	ds_write2_b32 v53, v0, v2 offset1:17
	v_pack_b32_f16 v0, v1, v3
	v_add_f16_e32 v40, v40, v54
	ds_write_b32 v53, v0 offset:136
	v_mad_legacy_u16 v0, v30, 51, v31
	v_lshlrev_b32_e32 v54, 2, v0
	v_pack_b32_f16 v0, v37, v40
	v_pack_b32_f16 v1, v42, v23
	ds_write2_b32 v54, v0, v1 offset1:17
	v_pack_b32_f16 v0, v6, v21
	ds_write_b32 v54, v0 offset:136
	v_mad_legacy_u16 v0, v32, 51, v35
	v_lshlrev_b32_e32 v55, 2, v0
	v_pack_b32_f16 v0, v61, v63
	v_pack_b32_f16 v1, v62, v56
	ds_write2_b32 v55, v0, v1 offset1:17
	v_pack_b32_f16 v0, v7, v22
	ds_write_b32 v55, v0 offset:136
	v_mul_lo_u16_sdwa v0, v43, s15 dst_sel:DWORD dst_unused:UNUSED_PAD src0_sel:BYTE_0 src1_sel:DWORD
	v_lshrrev_b16_e32 v35, 13, v0
	v_mul_lo_u16_e32 v0, 51, v35
	v_sub_u16_e32 v0, v43, v0
	v_and_b32_e32 v36, 0xff, v0
	v_lshlrev_b32_e32 v0, 3, v36
	s_mov_b32 s15, 0xa0a1
	s_waitcnt lgkmcnt(0)
	s_barrier
	global_load_dwordx2 v[21:22], v0, s[2:3] offset:136
	v_mul_u32_u24_sdwa v0, v25, s15 dst_sel:DWORD dst_unused:UNUSED_PAD src0_sel:WORD_0 src1_sel:DWORD
	v_lshrrev_b32_e32 v37, 21, v0
	v_mul_lo_u16_e32 v0, 51, v37
	v_sub_u16_e32 v38, v25, v0
	v_lshlrev_b16_e32 v0, 3, v38
	v_mov_b32_e32 v2, s3
	v_add_co_u32_e32 v0, vcc, s2, v0
	v_addc_co_u32_e32 v1, vcc, 0, v2, vcc
	global_load_dwordx2 v[23:24], v[0:1], off offset:136
	v_mul_u32_u24_sdwa v0, v33, s15 dst_sel:DWORD dst_unused:UNUSED_PAD src0_sel:WORD_0 src1_sel:DWORD
	v_lshrrev_b32_e32 v39, 21, v0
	v_mul_lo_u16_e32 v0, 51, v39
	v_sub_u16_e32 v40, v33, v0
	v_lshlrev_b16_e32 v0, 3, v40
	v_add_co_u32_e32 v0, vcc, s2, v0
	v_addc_co_u32_e32 v1, vcc, 0, v2, vcc
	global_load_dwordx2 v[25:26], v[0:1], off offset:136
	v_mul_u32_u24_sdwa v0, v34, s15 dst_sel:DWORD dst_unused:UNUSED_PAD src0_sel:WORD_0 src1_sel:DWORD
	v_lshrrev_b32_e32 v42, 21, v0
	v_mul_lo_u16_e32 v0, 51, v42
	v_sub_u16_e32 v56, v34, v0
	v_lshlrev_b16_e32 v0, 3, v56
	v_add_co_u32_e32 v0, vcc, s2, v0
	v_addc_co_u32_e32 v1, vcc, 0, v2, vcc
	global_load_dwordx2 v[27:28], v[0:1], off offset:136
	ds_read2_b32 v[0:1], v44 offset1:153
	ds_read2_b32 v[2:3], v85 offset0:100 offset1:253
	ds_read2_b32 v[4:5], v83 offset0:72 offset1:225
	;; [unrolled: 1-line block ×5, first 2 shown]
	s_waitcnt lgkmcnt(0)
	v_lshrrev_b32_e32 v57, 16, v0
	v_lshrrev_b32_e32 v60, 16, v2
	v_lshrrev_b32_e32 v61, 16, v4
	v_lshrrev_b32_e32 v63, 16, v3
	v_lshrrev_b32_e32 v64, 16, v5
	v_lshrrev_b32_e32 v66, 16, v29
	v_lshrrev_b32_e32 v67, 16, v31
	v_lshrrev_b32_e32 v69, 16, v30
	v_lshrrev_b32_e32 v70, 16, v32
	v_lshrrev_b32_e32 v62, 16, v1
	v_lshrrev_b32_e32 v65, 16, v6
	v_lshrrev_b32_e32 v68, 16, v7
	s_waitcnt vmcnt(0)
	s_barrier
	v_add_u32_e32 v58, 0x264, v43
	v_add_u32_e32 v59, 0x2fd, v43
	v_mul_f16_sdwa v71, v60, v21 dst_sel:DWORD dst_unused:UNUSED_PAD src0_sel:DWORD src1_sel:WORD_1
	v_fma_f16 v71, v2, v21, -v71
	v_mul_f16_sdwa v2, v2, v21 dst_sel:DWORD dst_unused:UNUSED_PAD src0_sel:DWORD src1_sel:WORD_1
	v_fma_f16 v2, v60, v21, v2
	v_mul_f16_sdwa v60, v61, v22 dst_sel:DWORD dst_unused:UNUSED_PAD src0_sel:DWORD src1_sel:WORD_1
	v_fma_f16 v60, v4, v22, -v60
	v_mul_f16_sdwa v4, v4, v22 dst_sel:DWORD dst_unused:UNUSED_PAD src0_sel:DWORD src1_sel:WORD_1
	v_fma_f16 v4, v61, v22, v4
	v_add_f16_e32 v72, v71, v60
	v_mul_f16_sdwa v61, v63, v23 dst_sel:DWORD dst_unused:UNUSED_PAD src0_sel:DWORD src1_sel:WORD_1
	v_fma_f16 v61, v3, v23, -v61
	v_mul_f16_sdwa v3, v3, v23 dst_sel:DWORD dst_unused:UNUSED_PAD src0_sel:DWORD src1_sel:WORD_1
	v_fma_f16 v3, v63, v23, v3
	v_mul_f16_sdwa v63, v64, v24 dst_sel:DWORD dst_unused:UNUSED_PAD src0_sel:DWORD src1_sel:WORD_1
	v_fma_f16 v63, v5, v24, -v63
	v_mul_f16_sdwa v5, v5, v24 dst_sel:DWORD dst_unused:UNUSED_PAD src0_sel:DWORD src1_sel:WORD_1
	v_fma_f16 v5, v64, v24, v5
	;; [unrolled: 4-line block ×6, first 2 shown]
	v_add_f16_e32 v70, v0, v71
	v_fma_f16 v0, v72, -0.5, v0
	v_sub_f16_e32 v72, v2, v4
	v_fma_f16 v73, v72, s5, v0
	v_fma_f16 v0, v72, s4, v0
	v_add_f16_e32 v72, v57, v2
	v_add_f16_e32 v2, v2, v4
	;; [unrolled: 1-line block ×4, first 2 shown]
	v_fma_f16 v2, v2, -0.5, v57
	v_sub_f16_e32 v4, v71, v60
	v_add_f16_e32 v60, v61, v63
	v_fma_f16 v57, v4, s4, v2
	v_fma_f16 v2, v4, s5, v2
	v_add_f16_e32 v4, v1, v61
	v_fma_f16 v1, v60, -0.5, v1
	v_sub_f16_e32 v60, v3, v5
	v_fma_f16 v71, v60, s5, v1
	v_fma_f16 v1, v60, s4, v1
	v_add_f16_e32 v60, v62, v3
	v_add_f16_e32 v3, v3, v5
	;; [unrolled: 1-line block ×3, first 2 shown]
	v_fma_f16 v3, v3, -0.5, v62
	v_sub_f16_e32 v5, v61, v63
	v_add_f16_e32 v61, v64, v66
	v_add_f16_e32 v4, v4, v63
	v_fma_f16 v63, v5, s4, v3
	v_fma_f16 v3, v5, s5, v3
	v_add_f16_e32 v5, v6, v64
	v_fma_f16 v6, v61, -0.5, v6
	v_sub_f16_e32 v61, v29, v31
	v_fma_f16 v74, v61, s5, v6
	v_fma_f16 v6, v61, s4, v6
	v_add_f16_e32 v61, v65, v29
	v_add_f16_e32 v29, v29, v31
	;; [unrolled: 1-line block ×3, first 2 shown]
	v_fma_f16 v29, v29, -0.5, v65
	v_sub_f16_e32 v31, v64, v66
	v_add_f16_e32 v61, v67, v69
	v_fma_f16 v64, v31, s4, v29
	v_fma_f16 v29, v31, s5, v29
	v_add_f16_e32 v31, v7, v67
	v_fma_f16 v7, v61, -0.5, v7
	v_sub_f16_e32 v61, v30, v32
	v_fma_f16 v65, v61, s5, v7
	v_fma_f16 v7, v61, s4, v7
	v_add_f16_e32 v61, v68, v30
	v_add_f16_e32 v30, v30, v32
	;; [unrolled: 1-line block ×4, first 2 shown]
	v_fma_f16 v30, v30, -0.5, v68
	v_sub_f16_e32 v32, v67, v69
	v_fma_f16 v67, v32, s4, v30
	v_fma_f16 v30, v32, s5, v30
	v_mul_u32_u24_e32 v32, 0x99, v35
	v_add_lshl_u32 v61, v32, v36, 2
	v_pack_b32_f16 v0, v0, v2
	ds_write_b32 v61, v0 offset:408
	v_mad_legacy_u16 v0, v37, s14, v38
	v_pack_b32_f16 v32, v70, v72
	v_pack_b32_f16 v35, v73, v57
	v_lshlrev_b32_e32 v62, 2, v0
	v_pack_b32_f16 v0, v4, v60
	v_pack_b32_f16 v2, v71, v63
	ds_write2_b32 v61, v32, v35 offset1:51
	ds_write2_b32 v62, v0, v2 offset1:51
	v_pack_b32_f16 v0, v1, v3
	ds_write_b32 v62, v0 offset:408
	v_mad_legacy_u16 v0, v39, s14, v40
	v_lshlrev_b32_e32 v63, 2, v0
	v_pack_b32_f16 v0, v5, v75
	v_pack_b32_f16 v1, v74, v64
	ds_write2_b32 v63, v0, v1 offset1:51
	v_pack_b32_f16 v0, v6, v29
	v_add_f16_e32 v31, v31, v69
	ds_write_b32 v63, v0 offset:408
	v_mad_legacy_u16 v0, v42, s14, v56
	v_lshlrev_b32_e32 v64, 2, v0
	v_pack_b32_f16 v0, v31, v66
	v_pack_b32_f16 v1, v65, v67
	ds_write2_b32 v64, v0, v1 offset1:51
	v_pack_b32_f16 v0, v7, v30
	s_movk_i32 s14, 0x358b
	ds_write_b32 v64, v0 offset:408
	v_mul_u32_u24_sdwa v0, v33, s14 dst_sel:DWORD dst_unused:UNUSED_PAD src0_sel:WORD_0 src1_sel:DWORD
	v_lshrrev_b32_e32 v0, 21, v0
	v_mul_lo_u16_e32 v0, 0x99, v0
	v_sub_u16_e32 v0, v33, v0
	v_lshlrev_b32_e32 v56, 2, v0
	v_mul_u32_u24_sdwa v0, v34, s14 dst_sel:DWORD dst_unused:UNUSED_PAD src0_sel:WORD_0 src1_sel:DWORD
	v_lshrrev_b32_e32 v0, 21, v0
	v_lshlrev_b32_e32 v42, 2, v43
	v_mul_lo_u16_e32 v0, 0x99, v0
	s_waitcnt lgkmcnt(0)
	s_barrier
	global_load_dword v60, v42, s[2:3] offset:544
	global_load_dword v66, v56, s[2:3] offset:544
	v_sub_u16_e32 v0, v34, v0
	v_lshlrev_b32_e32 v57, 2, v0
	global_load_dword v67, v57, s[2:3] offset:544
	v_mul_u32_u24_sdwa v0, v58, s14 dst_sel:DWORD dst_unused:UNUSED_PAD src0_sel:WORD_0 src1_sel:DWORD
	v_lshrrev_b32_e32 v0, 21, v0
	v_mul_lo_u16_e32 v0, 0x99, v0
	v_sub_u16_e32 v0, v58, v0
	v_lshlrev_b32_e32 v58, 2, v0
	global_load_dword v65, v58, s[2:3] offset:544
	v_mul_u32_u24_sdwa v0, v59, s14 dst_sel:DWORD dst_unused:UNUSED_PAD src0_sel:WORD_0 src1_sel:DWORD
	v_lshrrev_b32_e32 v0, 21, v0
	v_mul_lo_u16_e32 v0, 0x99, v0
	v_sub_u16_e32 v0, v59, v0
	v_lshlrev_b32_e32 v59, 2, v0
	global_load_dword v68, v59, s[2:3] offset:544
	ds_read2_b32 v[0:1], v44 offset1:153
	ds_read2_b32 v[2:3], v86 offset0:22 offset1:175
	ds_read2_b32 v[6:7], v83 offset0:72 offset1:225
	;; [unrolled: 1-line block ×5, first 2 shown]
	s_waitcnt lgkmcnt(5)
	v_lshrrev_b32_e32 v33, 16, v0
	s_waitcnt lgkmcnt(4)
	v_lshrrev_b32_e32 v34, 16, v2
	v_lshrrev_b32_e32 v36, 16, v3
	s_waitcnt lgkmcnt(3)
	v_lshrrev_b32_e32 v38, 16, v6
	;; [unrolled: 3-line block ×3, first 2 shown]
	v_lshrrev_b32_e32 v72, 16, v32
	v_lshrrev_b32_e32 v35, 16, v1
	;; [unrolled: 1-line block ×4, first 2 shown]
	s_waitcnt vmcnt(0)
	s_barrier
	v_lshrrev_b32_e32 v69, 16, v29
	v_lshrrev_b32_e32 v71, 16, v30
	v_mul_f16_sdwa v73, v34, v60 dst_sel:DWORD dst_unused:UNUSED_PAD src0_sel:DWORD src1_sel:WORD_1
	v_fma_f16 v73, v2, v60, -v73
	v_mul_f16_sdwa v2, v2, v60 dst_sel:DWORD dst_unused:UNUSED_PAD src0_sel:DWORD src1_sel:WORD_1
	v_fma_f16 v2, v34, v60, v2
	v_mul_f16_sdwa v34, v36, v60 dst_sel:DWORD dst_unused:UNUSED_PAD src0_sel:DWORD src1_sel:WORD_1
	v_fma_f16 v34, v3, v60, -v34
	v_mul_f16_sdwa v3, v3, v60 dst_sel:DWORD dst_unused:UNUSED_PAD src0_sel:DWORD src1_sel:WORD_1
	v_fma_f16 v3, v36, v60, v3
	;; [unrolled: 4-line block ×6, first 2 shown]
	v_sub_f16_e32 v72, v0, v73
	v_sub_f16_e32 v2, v33, v2
	v_fma_f16 v0, v0, 2.0, -v72
	v_fma_f16 v33, v33, 2.0, -v2
	v_sub_f16_e32 v34, v1, v34
	v_sub_f16_e32 v3, v35, v3
	v_fma_f16 v1, v1, 2.0, -v34
	v_fma_f16 v35, v35, 2.0, -v3
	v_sub_f16_e32 v36, v4, v36
	v_sub_f16_e32 v6, v37, v6
	v_pack_b32_f16 v0, v0, v33
	v_pack_b32_f16 v2, v72, v2
	v_fma_f16 v4, v4, 2.0, -v36
	v_fma_f16 v37, v37, 2.0, -v6
	v_sub_f16_e32 v38, v5, v38
	v_sub_f16_e32 v7, v39, v7
	ds_write2_b32 v44, v0, v2 offset1:153
	v_pack_b32_f16 v0, v1, v35
	v_pack_b32_f16 v1, v34, v3
	v_fma_f16 v5, v5, 2.0, -v38
	v_fma_f16 v39, v39, 2.0, -v7
	ds_write2_b32 v87, v0, v1 offset0:50 offset1:203
	v_pack_b32_f16 v0, v4, v37
	v_pack_b32_f16 v1, v36, v6
	v_add_u32_e32 v2, 0x800, v56
	v_sub_f16_e32 v40, v29, v40
	v_sub_f16_e32 v31, v69, v31
	ds_write2_b32 v2, v0, v1 offset0:100 offset1:253
	v_pack_b32_f16 v0, v5, v39
	v_mad_u64_u32 v[4:5], s[2:3], v43, 20, s[2:3]
	v_fma_f16 v29, v29, 2.0, -v40
	v_fma_f16 v69, v69, 2.0, -v31
	v_sub_f16_e32 v70, v30, v70
	v_sub_f16_e32 v32, v71, v32
	v_pack_b32_f16 v1, v38, v7
	v_add_u32_e32 v2, 0xe00, v57
	v_fma_f16 v30, v30, 2.0, -v70
	v_fma_f16 v71, v71, 2.0, -v32
	ds_write2_b32 v2, v0, v1 offset0:22 offset1:175
	v_pack_b32_f16 v0, v29, v69
	v_pack_b32_f16 v1, v40, v31
	v_add_u32_e32 v2, 0x1200, v58
	ds_write2_b32 v2, v0, v1 offset0:72 offset1:225
	v_pack_b32_f16 v0, v30, v71
	v_pack_b32_f16 v1, v70, v32
	v_add_u32_e32 v2, 0x1700, v59
	ds_write2_b32 v2, v0, v1 offset0:58 offset1:211
	s_waitcnt lgkmcnt(0)
	s_barrier
	global_load_dwordx4 v[0:3], v[4:5], off offset:1156
	global_load_dword v69, v[4:5], off offset:1172
	s_movk_i32 s2, 0xbf4
	v_add_co_u32_e32 v29, vcc, s2, v4
	v_addc_co_u32_e32 v30, vcc, 0, v5, vcc
	global_load_dwordx4 v[4:7], v[29:30], off offset:1156
	global_load_dword v70, v[29:30], off offset:1172
	ds_read2_b32 v[34:35], v44 offset1:153
	ds_read2_b32 v[29:30], v87 offset0:50 offset1:203
	ds_read2_b32 v[31:32], v85 offset0:100 offset1:253
	;; [unrolled: 1-line block ×5, first 2 shown]
	s_waitcnt lgkmcnt(4)
	v_lshrrev_b32_e32 v40, 16, v29
	s_waitcnt lgkmcnt(3)
	v_lshrrev_b32_e32 v73, 16, v31
	;; [unrolled: 2-line block ×5, first 2 shown]
	v_lshrrev_b32_e32 v78, 16, v30
	v_lshrrev_b32_e32 v79, 16, v32
	;; [unrolled: 1-line block ×7, first 2 shown]
	s_waitcnt vmcnt(3)
	v_mul_f16_sdwa v88, v40, v0 dst_sel:DWORD dst_unused:UNUSED_PAD src0_sel:DWORD src1_sel:WORD_1
	v_fma_f16 v88, v29, v0, -v88
	v_mul_f16_sdwa v29, v29, v0 dst_sel:DWORD dst_unused:UNUSED_PAD src0_sel:DWORD src1_sel:WORD_1
	v_fma_f16 v29, v40, v0, v29
	v_mul_f16_sdwa v40, v73, v1 dst_sel:DWORD dst_unused:UNUSED_PAD src0_sel:DWORD src1_sel:WORD_1
	v_fma_f16 v40, v31, v1, -v40
	v_mul_f16_sdwa v31, v31, v1 dst_sel:DWORD dst_unused:UNUSED_PAD src0_sel:DWORD src1_sel:WORD_1
	v_fma_f16 v31, v73, v1, v31
	;; [unrolled: 4-line block ×4, first 2 shown]
	s_waitcnt vmcnt(2)
	v_mul_f16_sdwa v75, v76, v69 dst_sel:DWORD dst_unused:UNUSED_PAD src0_sel:DWORD src1_sel:WORD_1
	v_fma_f16 v75, v71, v69, -v75
	v_mul_f16_sdwa v71, v71, v69 dst_sel:DWORD dst_unused:UNUSED_PAD src0_sel:DWORD src1_sel:WORD_1
	v_fma_f16 v71, v76, v69, v71
	s_waitcnt vmcnt(1)
	v_mul_f16_sdwa v76, v78, v4 dst_sel:DWORD dst_unused:UNUSED_PAD src0_sel:DWORD src1_sel:WORD_1
	v_fma_f16 v89, v30, v4, -v76
	v_mul_f16_sdwa v30, v30, v4 dst_sel:DWORD dst_unused:UNUSED_PAD src0_sel:DWORD src1_sel:WORD_1
	v_fma_f16 v78, v78, v4, v30
	v_mul_f16_sdwa v30, v79, v5 dst_sel:DWORD dst_unused:UNUSED_PAD src0_sel:DWORD src1_sel:WORD_1
	v_fma_f16 v90, v32, v5, -v30
	v_mul_f16_sdwa v30, v32, v5 dst_sel:DWORD dst_unused:UNUSED_PAD src0_sel:DWORD src1_sel:WORD_1
	v_fma_f16 v79, v79, v5, v30
	;; [unrolled: 4-line block ×4, first 2 shown]
	s_waitcnt vmcnt(0)
	v_mul_f16_sdwa v30, v82, v70 dst_sel:DWORD dst_unused:UNUSED_PAD src0_sel:DWORD src1_sel:WORD_1
	v_fma_f16 v81, v72, v70, -v30
	v_mul_f16_sdwa v30, v72, v70 dst_sel:DWORD dst_unused:UNUSED_PAD src0_sel:DWORD src1_sel:WORD_1
	v_fma_f16 v82, v82, v70, v30
	v_add_f16_e32 v30, v34, v40
	v_add_f16_e32 v32, v30, v74
	v_add_f16_e32 v30, v40, v74
	v_fma_f16 v30, v30, -0.5, v34
	v_sub_f16_e32 v34, v31, v38
	v_fma_f16 v76, v34, s5, v30
	v_fma_f16 v34, v34, s4, v30
	v_add_f16_e32 v30, v33, v31
	v_add_f16_e32 v92, v30, v38
	v_add_f16_e32 v30, v31, v38
	v_fma_f16 v30, v30, -0.5, v33
	v_sub_f16_e32 v31, v40, v74
	v_fma_f16 v38, v31, s4, v30
	;; [unrolled: 7-line block ×4, first 2 shown]
	v_fma_f16 v73, v30, s5, v29
	v_mul_f16_e32 v30, 0x3aee, v36
	v_fma_f16 v75, v72, 0.5, v30
	v_mul_f16_e32 v72, 0xbaee, v72
	v_fma_f16 v36, v36, 0.5, v72
	v_add_f16_e32 v29, v32, v33
	v_add_f16_e32 v30, v76, v75
	v_mul_f16_e32 v31, -0.5, v74
	v_add_f16_e32 v72, v38, v36
	v_sub_f16_e32 v32, v32, v33
	v_sub_f16_e32 v33, v76, v75
	;; [unrolled: 1-line block ×3, first 2 shown]
	v_add_f16_e32 v36, v35, v90
	v_fma_f16 v93, v73, s5, v31
	v_mul_f16_e32 v73, -0.5, v73
	v_add_f16_e32 v38, v36, v80
	v_add_f16_e32 v36, v90, v80
	v_fma_f16 v94, v74, s4, v73
	v_fma_f16 v35, v36, -0.5, v35
	v_sub_f16_e32 v36, v79, v39
	v_add_f16_e32 v71, v92, v88
	v_add_f16_e32 v73, v40, v94
	v_sub_f16_e32 v74, v92, v88
	v_sub_f16_e32 v76, v40, v94
	v_fma_f16 v40, v36, s5, v35
	v_fma_f16 v88, v36, s4, v35
	v_add_f16_e32 v35, v77, v79
	v_add_f16_e32 v92, v35, v39
	v_add_f16_e32 v35, v79, v39
	v_fma_f16 v35, v35, -0.5, v77
	v_sub_f16_e32 v36, v90, v80
	v_add_f16_e32 v31, v34, v93
	v_sub_f16_e32 v34, v34, v93
	v_fma_f16 v90, v36, s4, v35
	v_fma_f16 v93, v36, s5, v35
	v_add_f16_e32 v35, v89, v91
	v_add_f16_e32 v39, v35, v81
	;; [unrolled: 1-line block ×3, first 2 shown]
	v_fma_f16 v35, v35, -0.5, v89
	v_sub_f16_e32 v36, v37, v82
	v_fma_f16 v79, v36, s5, v35
	v_fma_f16 v80, v36, s4, v35
	v_add_f16_e32 v35, v78, v37
	v_add_f16_e32 v89, v35, v82
	;; [unrolled: 1-line block ×3, first 2 shown]
	v_fma_f16 v35, v35, -0.5, v78
	v_sub_f16_e32 v36, v91, v81
	v_fma_f16 v78, v36, s4, v35
	v_fma_f16 v81, v36, s5, v35
	v_mul_f16_e32 v36, 0x3aee, v78
	v_fma_f16 v82, v79, 0.5, v36
	v_mul_f16_e32 v37, -0.5, v80
	v_mul_f16_e32 v79, 0xbaee, v79
	v_add_f16_e32 v35, v38, v39
	v_fma_f16 v91, v81, s5, v37
	v_add_f16_e32 v77, v92, v89
	v_fma_f16 v94, v78, 0.5, v79
	v_mul_f16_e32 v79, -0.5, v81
	v_add_f16_e32 v36, v40, v82
	v_add_f16_e32 v37, v88, v91
	;; [unrolled: 1-line block ×3, first 2 shown]
	v_fma_f16 v95, v80, s4, v79
	v_sub_f16_e32 v38, v38, v39
	v_sub_f16_e32 v39, v40, v82
	;; [unrolled: 1-line block ×4, first 2 shown]
	v_pack_b32_f16 v88, v29, v71
	v_pack_b32_f16 v94, v35, v77
	v_add_f16_e32 v79, v93, v95
	v_sub_f16_e32 v80, v92, v89
	v_pack_b32_f16 v89, v30, v72
	ds_write2_b32 v44, v88, v94 offset1:153
	v_pack_b32_f16 v88, v36, v78
	v_pack_b32_f16 v90, v31, v73
	ds_write2_b32 v87, v89, v88 offset0:50 offset1:203
	v_pack_b32_f16 v87, v37, v79
	v_pack_b32_f16 v91, v32, v74
	ds_write2_b32 v85, v90, v87 offset0:100 offset1:253
	v_pack_b32_f16 v85, v38, v80
	v_sub_f16_e32 v82, v93, v95
	v_pack_b32_f16 v92, v33, v75
	ds_write2_b32 v86, v91, v85 offset0:22 offset1:175
	v_pack_b32_f16 v85, v39, v81
	v_pack_b32_f16 v93, v34, v76
	ds_write2_b32 v83, v92, v85 offset0:72 offset1:225
	v_pack_b32_f16 v83, v40, v82
	ds_write2_b32 v84, v93, v83 offset0:58 offset1:211
	s_waitcnt lgkmcnt(0)
	s_barrier
	s_and_saveexec_b64 s[2:3], s[0:1]
	s_cbranch_execz .LBB0_9
; %bb.8:
	v_mov_b32_e32 v83, s7
	v_add_co_u32_e32 v87, vcc, s6, v41
	v_addc_co_u32_e32 v88, vcc, 0, v83, vcc
	v_add_co_u32_e32 v83, vcc, 0x1cb0, v87
	v_addc_co_u32_e32 v84, vcc, 0, v88, vcc
	;; [unrolled: 2-line block ×3, first 2 shown]
	global_load_dword v89, v[85:86], off offset:3248
	global_load_dword v91, v[83:84], off offset:432
	;; [unrolled: 1-line block ×9, first 2 shown]
	s_movk_i32 s4, 0x2000
	v_add_co_u32_e32 v85, vcc, s4, v87
	s_movk_i32 s5, 0x3000
	v_addc_co_u32_e32 v86, vcc, 0, v88, vcc
	v_add_co_u32_e32 v87, vcc, s5, v87
	v_addc_co_u32_e32 v88, vcc, 0, v88, vcc
	global_load_dword v99, v[85:86], off offset:3472
	global_load_dword v100, v[85:86], off offset:3904
	;; [unrolled: 1-line block ×8, first 2 shown]
	ds_read_b32 v83, v44
	v_add_u32_e32 v106, 0x400, v42
	v_add_u32_e32 v107, 0x800, v42
	;; [unrolled: 1-line block ×3, first 2 shown]
	s_waitcnt lgkmcnt(0)
	v_lshrrev_b32_e32 v84, 16, v83
	s_waitcnt vmcnt(16)
	v_mul_f16_sdwa v85, v84, v89 dst_sel:DWORD dst_unused:UNUSED_PAD src0_sel:DWORD src1_sel:WORD_1
	v_mul_f16_sdwa v86, v83, v89 dst_sel:DWORD dst_unused:UNUSED_PAD src0_sel:DWORD src1_sel:WORD_1
	v_fma_f16 v83, v83, v89, -v85
	v_fma_f16 v84, v84, v89, v86
	v_pack_b32_f16 v83, v83, v84
	ds_write_b32 v44, v83
	ds_read2_b32 v[83:84], v42 offset0:108 offset1:216
	ds_read2_b32 v[85:86], v106 offset0:68 offset1:176
	;; [unrolled: 1-line block ×4, first 2 shown]
	s_waitcnt lgkmcnt(2)
	v_lshrrev_b32_e32 v114, 16, v85
	v_lshrrev_b32_e32 v110, 16, v83
	s_waitcnt vmcnt(15)
	v_mul_f16_sdwa v111, v83, v91 dst_sel:DWORD dst_unused:UNUSED_PAD src0_sel:DWORD src1_sel:WORD_1
	v_lshrrev_b32_e32 v112, 16, v84
	s_waitcnt vmcnt(14)
	v_mul_f16_sdwa v113, v84, v92 dst_sel:DWORD dst_unused:UNUSED_PAD src0_sel:DWORD src1_sel:WORD_1
	s_waitcnt vmcnt(13)
	v_mul_f16_sdwa v115, v85, v93 dst_sel:DWORD dst_unused:UNUSED_PAD src0_sel:DWORD src1_sel:WORD_1
	v_lshrrev_b32_e32 v116, 16, v86
	s_waitcnt vmcnt(12)
	v_mul_f16_sdwa v117, v86, v94 dst_sel:DWORD dst_unused:UNUSED_PAD src0_sel:DWORD src1_sel:WORD_1
	s_waitcnt lgkmcnt(1)
	v_lshrrev_b32_e32 v118, 16, v87
	s_waitcnt vmcnt(11)
	v_mul_f16_sdwa v119, v87, v95 dst_sel:DWORD dst_unused:UNUSED_PAD src0_sel:DWORD src1_sel:WORD_1
	v_lshrrev_b32_e32 v120, 16, v88
	v_mul_f16_sdwa v123, v110, v91 dst_sel:DWORD dst_unused:UNUSED_PAD src0_sel:DWORD src1_sel:WORD_1
	v_fma_f16 v110, v110, v91, v111
	v_mul_f16_sdwa v111, v112, v92 dst_sel:DWORD dst_unused:UNUSED_PAD src0_sel:DWORD src1_sel:WORD_1
	s_waitcnt vmcnt(10)
	v_mul_f16_sdwa v121, v88, v96 dst_sel:DWORD dst_unused:UNUSED_PAD src0_sel:DWORD src1_sel:WORD_1
	v_fma_f16 v112, v112, v92, v113
	v_mul_f16_sdwa v113, v114, v93 dst_sel:DWORD dst_unused:UNUSED_PAD src0_sel:DWORD src1_sel:WORD_1
	v_fma_f16 v114, v114, v93, v115
	;; [unrolled: 2-line block ×4, first 2 shown]
	v_mul_f16_sdwa v119, v120, v96 dst_sel:DWORD dst_unused:UNUSED_PAD src0_sel:DWORD src1_sel:WORD_1
	v_fma_f16 v83, v83, v91, -v123
	v_fma_f16 v84, v84, v92, -v111
	s_waitcnt lgkmcnt(0)
	v_lshrrev_b32_e32 v122, 16, v89
	v_fma_f16 v120, v120, v96, v121
	v_fma_f16 v85, v85, v93, -v113
	v_fma_f16 v86, v86, v94, -v115
	;; [unrolled: 1-line block ×4, first 2 shown]
	v_pack_b32_f16 v83, v83, v110
	v_pack_b32_f16 v84, v84, v112
	s_waitcnt vmcnt(9)
	v_mul_f16_sdwa v121, v122, v97 dst_sel:DWORD dst_unused:UNUSED_PAD src0_sel:DWORD src1_sel:WORD_1
	v_pack_b32_f16 v85, v85, v114
	v_pack_b32_f16 v86, v86, v116
	;; [unrolled: 1-line block ×4, first 2 shown]
	ds_write2_b32 v42, v83, v84 offset0:108 offset1:216
	ds_write2_b32 v106, v85, v86 offset0:68 offset1:176
	;; [unrolled: 1-line block ×3, first 2 shown]
	v_mul_f16_sdwa v84, v89, v97 dst_sel:DWORD dst_unused:UNUSED_PAD src0_sel:DWORD src1_sel:WORD_1
	v_fma_f16 v83, v89, v97, -v121
	v_fma_f16 v84, v122, v97, v84
	v_lshrrev_b32_e32 v86, 16, v90
	v_pack_b32_f16 v85, v83, v84
	s_waitcnt vmcnt(8)
	v_mul_f16_sdwa v83, v86, v98 dst_sel:DWORD dst_unused:UNUSED_PAD src0_sel:DWORD src1_sel:WORD_1
	v_add_u32_e32 v88, 0xe00, v42
	v_fma_f16 v87, v90, v98, -v83
	ds_read2_b32 v[83:84], v88 offset0:76 offset1:184
	v_mul_f16_sdwa v89, v90, v98 dst_sel:DWORD dst_unused:UNUSED_PAD src0_sel:DWORD src1_sel:WORD_1
	v_fma_f16 v86, v86, v98, v89
	v_pack_b32_f16 v86, v87, v86
	ds_write2_b32 v108, v85, v86 offset0:116 offset1:224
	s_waitcnt lgkmcnt(1)
	v_lshrrev_b32_e32 v85, 16, v83
	s_waitcnt vmcnt(1)
	v_mul_f16_sdwa v86, v85, v105 dst_sel:DWORD dst_unused:UNUSED_PAD src0_sel:DWORD src1_sel:WORD_1
	v_fma_f16 v86, v83, v105, -v86
	v_mul_f16_sdwa v83, v83, v105 dst_sel:DWORD dst_unused:UNUSED_PAD src0_sel:DWORD src1_sel:WORD_1
	v_lshrrev_b32_e32 v87, 16, v84
	v_fma_f16 v83, v85, v105, v83
	v_mul_f16_sdwa v85, v87, v99 dst_sel:DWORD dst_unused:UNUSED_PAD src0_sel:DWORD src1_sel:WORD_1
	v_add_u32_e32 v90, 0x1200, v42
	v_pack_b32_f16 v83, v86, v83
	v_fma_f16 v89, v84, v99, -v85
	ds_read2_b32 v[85:86], v90 offset0:36 offset1:144
	v_mul_f16_sdwa v84, v84, v99 dst_sel:DWORD dst_unused:UNUSED_PAD src0_sel:DWORD src1_sel:WORD_1
	v_fma_f16 v84, v87, v99, v84
	v_pack_b32_f16 v84, v89, v84
	ds_write2_b32 v88, v83, v84 offset0:76 offset1:184
	s_waitcnt lgkmcnt(1)
	v_lshrrev_b32_e32 v83, 16, v85
	v_mul_f16_sdwa v84, v83, v100 dst_sel:DWORD dst_unused:UNUSED_PAD src0_sel:DWORD src1_sel:WORD_1
	v_fma_f16 v84, v85, v100, -v84
	v_mul_f16_sdwa v85, v85, v100 dst_sel:DWORD dst_unused:UNUSED_PAD src0_sel:DWORD src1_sel:WORD_1
	v_fma_f16 v83, v83, v100, v85
	v_lshrrev_b32_e32 v87, 16, v86
	v_pack_b32_f16 v85, v84, v83
	v_mul_f16_sdwa v83, v87, v101 dst_sel:DWORD dst_unused:UNUSED_PAD src0_sel:DWORD src1_sel:WORD_1
	v_add_u32_e32 v89, 0x1400, v42
	v_fma_f16 v88, v86, v101, -v83
	ds_read2_b32 v[83:84], v89 offset0:124 offset1:232
	v_mul_f16_sdwa v86, v86, v101 dst_sel:DWORD dst_unused:UNUSED_PAD src0_sel:DWORD src1_sel:WORD_1
	v_fma_f16 v86, v87, v101, v86
	v_pack_b32_f16 v86, v88, v86
	ds_write2_b32 v90, v85, v86 offset0:36 offset1:144
	s_waitcnt lgkmcnt(1)
	v_lshrrev_b32_e32 v85, 16, v83
	v_mul_f16_sdwa v86, v85, v102 dst_sel:DWORD dst_unused:UNUSED_PAD src0_sel:DWORD src1_sel:WORD_1
	v_fma_f16 v86, v83, v102, -v86
	v_mul_f16_sdwa v83, v83, v102 dst_sel:DWORD dst_unused:UNUSED_PAD src0_sel:DWORD src1_sel:WORD_1
	v_lshrrev_b32_e32 v87, 16, v84
	v_fma_f16 v83, v85, v102, v83
	v_mul_f16_sdwa v85, v87, v103 dst_sel:DWORD dst_unused:UNUSED_PAD src0_sel:DWORD src1_sel:WORD_1
	v_add_u32_e32 v90, 0x1800, v42
	v_pack_b32_f16 v83, v86, v83
	v_fma_f16 v88, v84, v103, -v85
	ds_read2_b32 v[85:86], v90 offset0:84 offset1:192
	v_mul_f16_sdwa v84, v84, v103 dst_sel:DWORD dst_unused:UNUSED_PAD src0_sel:DWORD src1_sel:WORD_1
	v_fma_f16 v84, v87, v103, v84
	v_pack_b32_f16 v84, v88, v84
	ds_write2_b32 v89, v83, v84 offset0:124 offset1:232
	s_waitcnt lgkmcnt(1)
	v_lshrrev_b32_e32 v83, 16, v85
	v_mul_f16_sdwa v84, v83, v104 dst_sel:DWORD dst_unused:UNUSED_PAD src0_sel:DWORD src1_sel:WORD_1
	v_fma_f16 v84, v85, v104, -v84
	v_mul_f16_sdwa v85, v85, v104 dst_sel:DWORD dst_unused:UNUSED_PAD src0_sel:DWORD src1_sel:WORD_1
	v_fma_f16 v83, v83, v104, v85
	v_pack_b32_f16 v83, v84, v83
	v_lshrrev_b32_e32 v84, 16, v86
	s_waitcnt vmcnt(0)
	v_mul_f16_sdwa v85, v84, v109 dst_sel:DWORD dst_unused:UNUSED_PAD src0_sel:DWORD src1_sel:WORD_1
	v_fma_f16 v85, v86, v109, -v85
	v_mul_f16_sdwa v86, v86, v109 dst_sel:DWORD dst_unused:UNUSED_PAD src0_sel:DWORD src1_sel:WORD_1
	v_fma_f16 v84, v84, v109, v86
	v_pack_b32_f16 v84, v85, v84
	ds_write2_b32 v90, v83, v84 offset0:84 offset1:192
.LBB0_9:
	s_or_b64 exec, exec, s[2:3]
	s_waitcnt lgkmcnt(0)
	s_barrier
	s_and_saveexec_b64 s[2:3], s[0:1]
	s_cbranch_execz .LBB0_11
; %bb.10:
	v_add_u32_e32 v9, 0x200, v44
	ds_read2_b32 v[31:32], v9 offset0:88 offset1:196
	v_add_u32_e32 v9, 0x600, v44
	ds_read2_b32 v[33:34], v9 offset0:48 offset1:156
	;; [unrolled: 2-line block ×5, first 2 shown]
	v_add_u32_e32 v9, 0x1400, v44
	v_add_u32_e32 v11, 0x1600, v44
	ds_read2_b32 v[29:30], v44 offset1:108
	ds_read2_b32 v[9:10], v9 offset0:16 offset1:124
	ds_read2_b32 v[11:12], v11 offset0:104 offset1:212
	ds_read_b32 v46, v44 offset:6912
	s_waitcnt lgkmcnt(8)
	v_lshrrev_b32_e32 v73, 16, v31
	s_waitcnt lgkmcnt(3)
	v_lshrrev_b32_e32 v71, 16, v29
	v_lshrrev_b32_e32 v72, 16, v30
	;; [unrolled: 1-line block ×11, first 2 shown]
	s_waitcnt lgkmcnt(2)
	v_lshrrev_b32_e32 v50, 16, v9
	v_lshrrev_b32_e32 v49, 16, v10
	s_waitcnt lgkmcnt(1)
	v_lshrrev_b32_e32 v48, 16, v11
	v_lshrrev_b32_e32 v47, 16, v12
	s_waitcnt lgkmcnt(0)
	v_lshrrev_b32_e32 v51, 16, v46
.LBB0_11:
	s_or_b64 exec, exec, s[2:3]
	s_barrier
	s_and_saveexec_b64 s[2:3], s[0:1]
	s_cbranch_execz .LBB0_13
; %bb.12:
	v_sub_f16_e32 v83, v30, v46
	v_mul_f16_e32 v107, 0xba62, v83
	v_add_f16_e32 v108, v51, v72
	s_mov_b32 s4, 0xb8d2
	v_fma_f16 v84, v108, s4, v107
	v_add_f16_e32 v85, v71, v84
	v_sub_f16_e32 v84, v31, v12
	v_mul_f16_e32 v109, 0x3bb2, v84
	v_add_f16_e32 v110, v47, v73
	s_mov_b32 s5, 0xb461
	v_fma_f16 v86, v110, s5, v109
	v_add_f16_e32 v85, v86, v85
	v_sub_f16_e32 v86, v32, v11
	v_mul_f16_e32 v111, 0xb5c8, v86
	v_add_f16_e32 v112, v48, v74
	s_movk_i32 s16, 0x3b76
	v_fma_f16 v87, v112, s16, v111
	v_add_f16_e32 v85, v87, v85
	v_sub_f16_e32 v87, v33, v10
	v_mul_f16_e32 v113, 0xb836, v87
	v_add_f16_e32 v114, v49, v75
	s_mov_b32 s15, 0xbacd
	v_fma_f16 v88, v114, s15, v113
	v_add_f16_e32 v85, v88, v85
	v_sub_f16_e32 v88, v34, v9
	v_mul_f16_e32 v115, 0x3bf7, v88
	v_add_f16_e32 v116, v50, v76
	s_movk_i32 s18, 0x2de8
	v_fma_f16 v89, v116, s18, v115
	v_add_f16_e32 v85, v89, v85
	v_sub_f16_e32 v89, v35, v40
	v_mul_f16_e32 v117, 0xb964, v89
	v_add_f16_e32 v118, v82, v77
	s_movk_i32 s21, 0x39e9
	v_fma_f16 v90, v118, s21, v117
	v_add_f16_e32 v85, v90, v85
	v_sub_f16_e32 v90, v36, v39
	v_mul_f16_e32 v119, 0xb1e1, v90
	v_add_f16_e32 v120, v81, v78
	s_mov_b32 s20, 0xbbdd
	v_fma_f16 v91, v120, s20, v119
	v_add_f16_e32 v85, v91, v85
	v_sub_f16_e32 v91, v37, v38
	v_mul_f16_e32 v121, 0x3b29, v91
	v_add_f16_e32 v122, v80, v79
	s_movk_i32 s24, 0x3722
	v_fma_f16 v92, v122, s24, v121
	v_sub_f16_e32 v123, v72, v51
	v_add_f16_e32 v85, v92, v85
	v_add_f16_e32 v92, v46, v30
	v_mul_f16_e32 v124, 0xba62, v123
	v_fma_f16 v107, v108, s4, -v107
	v_fma_f16 v93, v92, s4, -v124
	v_sub_f16_e32 v125, v73, v47
	v_add_f16_e32 v107, v71, v107
	v_fma_f16 v109, v110, s5, -v109
	v_add_f16_e32 v94, v29, v93
	v_add_f16_e32 v93, v12, v31
	v_mul_f16_e32 v126, 0x3bb2, v125
	v_add_f16_e32 v107, v109, v107
	v_fma_f16 v109, v112, s16, -v111
	v_fma_f16 v95, v93, s5, -v126
	v_sub_f16_e32 v127, v74, v48
	v_add_f16_e32 v107, v109, v107
	v_fma_f16 v109, v114, s15, -v113
	v_add_f16_e32 v95, v95, v94
	v_add_f16_e32 v94, v11, v32
	v_mul_f16_e32 v128, 0xb5c8, v127
	v_add_f16_e32 v107, v109, v107
	;; [unrolled: 9-line block ×4, first 2 shown]
	v_fma_f16 v109, v92, s4, v124
	v_fma_f16 v98, v97, s18, -v132
	v_sub_f16_e32 v133, v77, v82
	v_add_f16_e32 v109, v29, v109
	v_fma_f16 v111, v93, s5, v126
	v_add_f16_e32 v95, v98, v95
	v_add_f16_e32 v98, v40, v35
	v_mul_f16_e32 v134, 0xb964, v133
	v_add_f16_e32 v109, v111, v109
	v_fma_f16 v111, v94, s16, v128
	v_fma_f16 v99, v98, s21, -v134
	v_sub_f16_e32 v135, v78, v81
	v_add_f16_e32 v109, v111, v109
	v_fma_f16 v111, v96, s15, v130
	v_add_f16_e32 v95, v99, v95
	v_add_f16_e32 v99, v39, v36
	v_mul_f16_e32 v136, 0xb1e1, v135
	v_add_f16_e32 v109, v111, v109
	;; [unrolled: 9-line block ×3, first 2 shown]
	v_fma_f16 v111, v99, s20, v136
	v_add_f16_e32 v109, v111, v109
	v_fma_f16 v111, v100, s24, v138
	s_movk_i32 s23, 0x3bb2
	v_add_f16_e32 v109, v111, v109
	v_mul_f16_e32 v111, 0xb461, v108
	s_mov_b32 s17, 0xb836
	v_fma_f16 v113, v83, s23, v111
	v_mul_f16_e32 v115, 0xbacd, v110
	v_add_f16_e32 v113, v71, v113
	v_fma_f16 v117, v84, s17, v115
	s_mov_b32 s25, 0xb964
	v_add_f16_e32 v113, v117, v113
	v_mul_f16_e32 v117, 0x39e9, v112
	v_fma_f16 v101, v100, s24, -v138
	v_mul_f16_e32 v139, 0xb836, v83
	v_fma_f16 v119, v86, s25, v117
	s_movk_i32 s26, 0x3b29
	v_add_f16_e32 v95, v101, v95
	v_fma_f16 v101, v108, s15, v139
	v_mul_f16_e32 v140, 0x3b29, v84
	v_fma_f16 v139, v108, s15, -v139
	v_add_f16_e32 v113, v119, v113
	v_mul_f16_e32 v119, 0x3722, v114
	v_fma_f16 v102, v110, s24, v140
	v_mul_f16_e32 v141, 0xbbf7, v86
	v_add_f16_e32 v139, v71, v139
	v_fma_f16 v140, v110, s24, -v140
	v_fma_f16 v121, v87, s26, v119
	v_mul_f16_e32 v142, 0x3a62, v87
	v_add_f16_e32 v139, v140, v139
	v_fma_f16 v140, v112, s18, -v141
	v_add_f16_e32 v113, v121, v113
	v_mul_f16_e32 v121, 0xbbdd, v116
	v_mul_f16_e32 v143, 0xb5c8, v88
	v_add_f16_e32 v139, v140, v139
	v_fma_f16 v140, v114, s4, -v142
	v_fma_f16 v124, v88, s36, v121
	v_add_f16_e32 v101, v71, v101
	s_mov_b32 s27, 0xbbf7
	v_mul_f16_e32 v144, 0xb1e1, v89
	v_add_f16_e32 v139, v140, v139
	v_fma_f16 v140, v116, s16, -v143
	v_add_f16_e32 v113, v124, v113
	v_mul_f16_e32 v124, 0x2de8, v118
	v_add_f16_e32 v101, v102, v101
	v_fma_f16 v102, v112, s18, v141
	v_mul_f16_e32 v145, 0x3964, v90
	v_add_f16_e32 v139, v140, v139
	v_fma_f16 v140, v118, s20, -v144
	v_fma_f16 v126, v89, s27, v124
	v_add_f16_e32 v101, v102, v101
	v_fma_f16 v102, v114, s4, v142
	v_mul_f16_e32 v146, 0xbbb2, v91
	s_movk_i32 s30, 0x35c8
	v_add_f16_e32 v139, v140, v139
	v_fma_f16 v140, v120, s21, -v145
	v_add_f16_e32 v113, v126, v113
	v_mul_f16_e32 v126, 0x3b76, v120
	v_add_f16_e32 v101, v102, v101
	v_fma_f16 v102, v116, s16, v143
	v_mul_f16_e32 v147, 0xb836, v123
	v_add_f16_e32 v139, v140, v139
	v_fma_f16 v140, v122, s5, -v146
	v_fma_f16 v128, v90, s30, v126
	s_movk_i32 s33, 0x3a62
	v_add_f16_e32 v101, v102, v101
	v_fma_f16 v102, v118, s20, v144
	v_mul_f16_e32 v148, 0x3b29, v125
	v_add_f16_e32 v139, v140, v139
	v_fma_f16 v140, v92, s15, v147
	v_add_f16_e32 v113, v128, v113
	v_mul_f16_e32 v128, 0xb8d2, v122
	v_add_f16_e32 v101, v102, v101
	v_fma_f16 v102, v120, s21, v145
	v_mul_f16_e32 v149, 0xbbf7, v127
	v_add_f16_e32 v140, v29, v140
	v_fma_f16 v141, v93, s24, v148
	v_fma_f16 v130, v91, s33, v128
	v_add_f16_e32 v101, v102, v101
	v_fma_f16 v102, v122, s5, v146
	v_mul_f16_e32 v150, 0x3a62, v129
	v_add_f16_e32 v140, v141, v140
	v_fma_f16 v141, v94, s18, v149
	v_add_f16_e32 v113, v130, v113
	v_mul_f16_e32 v130, 0xbbb2, v123
	v_add_f16_e32 v101, v102, v101
	v_fma_f16 v102, v92, s15, -v147
	v_mul_f16_e32 v151, 0xb5c8, v131
	v_add_f16_e32 v140, v141, v140
	v_fma_f16 v141, v96, s4, v150
	v_fma_f16 v132, v92, s5, v130
	v_mul_f16_e32 v134, 0x3836, v125
	v_add_f16_e32 v102, v29, v102
	v_fma_f16 v103, v93, s24, -v148
	v_mul_f16_e32 v152, 0xb1e1, v133
	v_add_f16_e32 v140, v141, v140
	v_fma_f16 v141, v97, s16, v151
	v_add_f16_e32 v132, v29, v132
	v_fma_f16 v136, v93, s15, v134
	v_add_f16_e32 v102, v103, v102
	v_fma_f16 v103, v94, s18, -v149
	v_mul_f16_e32 v153, 0x3964, v135
	v_add_f16_e32 v140, v141, v140
	v_fma_f16 v141, v98, s20, v152
	v_add_f16_e32 v132, v136, v132
	v_mul_f16_e32 v136, 0x3964, v127
	v_add_f16_e32 v102, v103, v102
	v_fma_f16 v103, v96, s4, -v150
	v_mul_f16_e32 v154, 0xbbb2, v137
	v_add_f16_e32 v140, v141, v140
	v_fma_f16 v141, v99, s21, v153
	v_fma_f16 v138, v94, s21, v136
	v_add_f16_e32 v102, v103, v102
	v_fma_f16 v103, v97, s16, -v151
	v_add_f16_e32 v140, v141, v140
	v_fma_f16 v141, v100, s5, v154
	v_add_f16_e32 v132, v138, v132
	v_mul_f16_e32 v138, 0xbb29, v129
	v_add_f16_e32 v102, v103, v102
	v_fma_f16 v103, v98, s20, -v152
	v_add_f16_e32 v140, v141, v140
	v_fma_f16 v141, v96, s24, v138
	v_add_f16_e32 v102, v103, v102
	v_fma_f16 v103, v99, s21, -v153
	v_add_f16_e32 v132, v141, v132
	v_mul_f16_e32 v141, 0xb1e1, v131
	v_add_f16_e32 v102, v103, v102
	v_fma_f16 v103, v100, s5, -v154
	v_mul_f16_e32 v105, 0xb1e1, v83
	v_fma_f16 v142, v97, s20, v141
	v_add_f16_e32 v102, v103, v102
	v_fma_f16 v103, v108, s20, v105
	v_mul_f16_e32 v106, 0x35c8, v84
	v_add_f16_e32 v132, v142, v132
	v_mul_f16_e32 v142, 0x3bf7, v133
	v_add_f16_e32 v103, v71, v103
	v_fma_f16 v104, v110, s16, v106
	v_mul_f16_e32 v155, 0xb836, v86
	v_fma_f16 v143, v98, s18, v142
	v_add_f16_e32 v103, v104, v103
	v_fma_f16 v104, v112, s15, v155
	v_mul_f16_e32 v156, 0x3964, v87
	v_add_f16_e32 v132, v143, v132
	v_mul_f16_e32 v143, 0xb5c8, v135
	v_add_f16_e32 v103, v104, v103
	v_fma_f16 v104, v114, s21, v156
	;; [unrolled: 9-line block ×3, first 2 shown]
	v_mul_f16_e32 v159, 0xbbb2, v90
	v_fma_f16 v145, v100, s4, v144
	s_movk_i32 s29, 0x3bf7
	v_add_f16_e32 v103, v104, v103
	v_fma_f16 v104, v120, s5, v159
	v_mul_f16_e32 v160, 0x3bf7, v91
	v_fma_f16 v105, v108, s20, -v105
	v_add_f16_e32 v132, v145, v132
	v_mul_f16_e32 v145, 0x2de8, v108
	v_add_f16_e32 v103, v104, v103
	v_fma_f16 v104, v122, s18, v160
	v_mul_f16_e32 v161, 0xb1e1, v123
	v_add_f16_e32 v105, v71, v105
	v_fma_f16 v106, v110, s16, -v106
	v_fma_f16 v146, v83, s29, v145
	v_mul_f16_e32 v147, 0xbbdd, v110
	v_add_f16_e32 v103, v104, v103
	v_fma_f16 v104, v92, s20, -v161
	v_mul_f16_e32 v162, 0x35c8, v125
	v_add_f16_e32 v105, v106, v105
	v_fma_f16 v106, v112, s15, -v155
	v_add_f16_e32 v146, v71, v146
	v_fma_f16 v148, v84, s36, v147
	s_mov_b32 s28, 0xbbb2
	v_add_f16_e32 v104, v29, v104
	v_fma_f16 v163, v93, s16, -v162
	v_add_f16_e32 v105, v106, v105
	v_fma_f16 v106, v114, s21, -v156
	v_add_f16_e32 v146, v148, v146
	v_mul_f16_e32 v148, 0xb461, v112
	v_add_f16_e32 v104, v163, v104
	v_mul_f16_e32 v163, 0xb836, v127
	v_add_f16_e32 v105, v106, v105
	v_fma_f16 v106, v116, s4, -v157
	v_fma_f16 v149, v86, s28, v148
	s_mov_b32 s19, 0xb5c8
	v_fma_f16 v164, v94, s15, -v163
	v_add_f16_e32 v105, v106, v105
	v_fma_f16 v106, v118, s24, -v158
	v_add_f16_e32 v146, v149, v146
	v_mul_f16_e32 v149, 0x3b76, v114
	v_add_f16_e32 v104, v164, v104
	v_mul_f16_e32 v164, 0x3964, v129
	v_add_f16_e32 v105, v106, v105
	v_fma_f16 v106, v120, s5, -v159
	v_fma_f16 v150, v87, s19, v149
	v_fma_f16 v165, v96, s21, -v164
	v_add_f16_e32 v105, v106, v105
	v_fma_f16 v106, v122, s18, -v160
	v_add_f16_e32 v146, v150, v146
	v_mul_f16_e32 v150, 0x3722, v116
	v_add_f16_e32 v104, v165, v104
	v_mul_f16_e32 v165, 0xba62, v131
	v_add_f16_e32 v105, v106, v105
	v_fma_f16 v106, v92, s20, v161
	v_fma_f16 v151, v88, s26, v150
	v_fma_f16 v166, v97, s4, -v165
	v_add_f16_e32 v106, v29, v106
	v_fma_f16 v155, v93, s16, v162
	s_movk_i32 s35, 0x3836
	v_add_f16_e32 v146, v151, v146
	v_mul_f16_e32 v151, 0xbacd, v118
	v_add_f16_e32 v104, v166, v104
	v_mul_f16_e32 v166, 0x3b29, v133
	v_add_f16_e32 v106, v155, v106
	v_fma_f16 v155, v94, s15, v163
	v_fma_f16 v152, v89, s35, v151
	s_mov_b32 s14, 0xba62
	v_fma_f16 v167, v98, s24, -v166
	v_add_f16_e32 v106, v155, v106
	v_fma_f16 v155, v96, s21, v164
	v_add_f16_e32 v146, v152, v146
	v_mul_f16_e32 v152, 0xb8d2, v120
	v_add_f16_e32 v104, v167, v104
	v_mul_f16_e32 v167, 0xbbb2, v135
	v_add_f16_e32 v106, v155, v106
	v_fma_f16 v155, v97, s4, v165
	v_fma_f16 v153, v90, s14, v152
	v_fma_f16 v168, v99, s5, -v167
	v_add_f16_e32 v106, v155, v106
	v_fma_f16 v155, v98, s24, v166
	v_add_f16_e32 v146, v153, v146
	v_mul_f16_e32 v153, 0x39e9, v122
	v_add_f16_e32 v104, v168, v104
	v_mul_f16_e32 v168, 0x3bf7, v137
	v_add_f16_e32 v106, v155, v106
	v_fma_f16 v155, v99, s5, v167
	v_fma_f16 v154, v91, s25, v153
	v_add_f16_e32 v30, v30, v29
	v_add_f16_e32 v106, v155, v106
	v_fma_f16 v155, v100, s18, v168
	v_add_f16_e32 v146, v154, v146
	v_mul_f16_e32 v154, 0xbbf7, v123
	v_add_f16_e32 v30, v31, v30
	v_add_f16_e32 v106, v155, v106
	v_fma_f16 v155, v92, s18, v154
	v_mul_f16_e32 v156, 0xb1e1, v125
	v_add_f16_e32 v30, v32, v30
	v_add_f16_e32 v155, v29, v155
	v_fma_f16 v157, v93, s20, v156
	v_add_f16_e32 v30, v33, v30
	v_add_f16_e32 v155, v157, v155
	v_mul_f16_e32 v157, 0x3bb2, v127
	v_add_f16_e32 v30, v34, v30
	v_fma_f16 v158, v94, s5, v157
	v_add_f16_e32 v30, v35, v30
	v_add_f16_e32 v155, v158, v155
	v_mul_f16_e32 v158, 0x35c8, v129
	;; [unrolled: 5-line block ×5, first 2 shown]
	v_add_f16_e32 v9, v10, v9
	v_fma_f16 v162, v99, s4, v161
	v_add_f16_e32 v9, v11, v9
	v_fma_f16 v11, v83, s28, v111
	s_movk_i32 s31, 0x3964
	v_add_f16_e32 v155, v162, v155
	v_mul_f16_e32 v162, 0x3964, v137
	v_add_f16_e32 v9, v12, v9
	v_add_f16_e32 v11, v71, v11
	v_fma_f16 v12, v84, s35, v115
	s_mov_b32 s34, 0xbb29
	v_fma_f16 v163, v100, s21, v162
	v_add_f16_e32 v11, v12, v11
	v_fma_f16 v12, v86, s31, v117
	s_mov_b32 s22, 0xb1e1
	v_add_f16_e32 v155, v163, v155
	v_mul_f16_e32 v163, 0x3722, v108
	v_add_f16_e32 v11, v12, v11
	v_fma_f16 v12, v87, s34, v119
	v_fma_f16 v164, v83, s26, v163
	v_mul_f16_e32 v165, 0xb8d2, v110
	v_add_f16_e32 v11, v12, v11
	v_fma_f16 v12, v88, s22, v121
	v_add_f16_e32 v164, v71, v164
	v_fma_f16 v166, v84, s33, v165
	;; [unrolled: 2-line block ×3, first 2 shown]
	v_add_f16_e32 v164, v166, v164
	v_mul_f16_e32 v166, 0xbbdd, v112
	v_add_f16_e32 v11, v12, v11
	v_fma_f16 v12, v90, s19, v126
	v_fma_f16 v167, v86, s22, v166
	v_add_f16_e32 v11, v12, v11
	v_fma_f16 v12, v91, s14, v128
	v_add_f16_e32 v164, v167, v164
	v_mul_f16_e32 v167, 0xb461, v114
	v_add_f16_e32 v11, v12, v11
	v_fma_f16 v12, v92, s5, -v130
	v_fma_f16 v169, v100, s18, -v168
	v_fma_f16 v168, v87, s28, v167
	v_add_f16_e32 v12, v29, v12
	v_fma_f16 v30, v93, s15, -v134
	v_add_f16_e32 v164, v168, v164
	v_mul_f16_e32 v168, 0x39e9, v116
	v_add_f16_e32 v12, v30, v12
	v_fma_f16 v30, v94, s21, -v136
	v_add_f16_e32 v104, v169, v104
	v_fma_f16 v169, v88, s25, v168
	v_add_f16_e32 v12, v30, v12
	v_fma_f16 v30, v96, s24, -v138
	v_add_f16_e32 v164, v169, v164
	v_mul_f16_e32 v169, 0x3b76, v118
	v_add_f16_e32 v12, v30, v12
	v_fma_f16 v30, v97, s20, -v141
	v_fma_f16 v170, v89, s30, v169
	v_add_f16_e32 v12, v30, v12
	v_fma_f16 v30, v98, s18, -v142
	v_add_f16_e32 v164, v170, v164
	v_mul_f16_e32 v170, 0x2de8, v120
	v_add_f16_e32 v12, v30, v12
	v_fma_f16 v30, v99, s16, -v143
	v_fma_f16 v171, v90, s29, v170
	v_add_f16_e32 v12, v30, v12
	v_fma_f16 v30, v100, s4, -v144
	v_add_f16_e32 v164, v171, v164
	v_mul_f16_e32 v171, 0xbacd, v122
	v_add_f16_e32 v12, v30, v12
	v_fma_f16 v30, v83, s27, v145
	v_fma_f16 v172, v91, s35, v171
	v_add_f16_e32 v30, v71, v30
	v_fma_f16 v31, v84, s22, v147
	v_add_f16_e32 v164, v172, v164
	v_mul_f16_e32 v172, 0xbb29, v123
	v_add_f16_e32 v30, v31, v30
	v_fma_f16 v31, v86, s23, v148
	v_fma_f16 v173, v92, s24, v172
	v_mul_f16_e32 v174, 0xba62, v125
	v_add_f16_e32 v30, v31, v30
	v_fma_f16 v31, v87, s30, v149
	v_add_f16_e32 v173, v29, v173
	v_fma_f16 v175, v93, s4, v174
	;; [unrolled: 2-line block ×3, first 2 shown]
	v_add_f16_e32 v173, v175, v173
	v_mul_f16_e32 v175, 0x31e1, v127
	v_add_f16_e32 v30, v31, v30
	v_fma_f16 v31, v89, s17, v151
	v_fma_f16 v176, v94, s20, v175
	v_add_f16_e32 v30, v31, v30
	v_fma_f16 v31, v90, s33, v152
	v_add_f16_e32 v173, v176, v173
	v_mul_f16_e32 v176, 0x3bb2, v129
	v_add_f16_e32 v30, v31, v30
	v_fma_f16 v31, v91, s31, v153
	v_fma_f16 v177, v96, s5, v176
	v_add_f16_e32 v30, v31, v30
	v_fma_f16 v31, v92, s18, -v154
	v_add_f16_e32 v173, v177, v173
	v_mul_f16_e32 v177, 0x3964, v131
	v_add_f16_e32 v31, v29, v31
	v_fma_f16 v32, v93, s20, -v156
	v_fma_f16 v178, v97, s21, v177
	v_add_f16_e32 v31, v32, v31
	v_fma_f16 v32, v94, s5, -v157
	v_add_f16_e32 v173, v178, v173
	v_mul_f16_e32 v178, 0xb5c8, v133
	v_add_f16_e32 v31, v32, v31
	v_fma_f16 v32, v96, s16, -v158
	;; [unrolled: 7-line block ×4, first 2 shown]
	v_fma_f16 v181, v100, s15, v180
	v_add_f16_e32 v31, v32, v31
	v_fma_f16 v32, v83, s34, v163
	v_add_f16_e32 v173, v181, v173
	v_mul_f16_e32 v181, 0x39e9, v108
	v_add_f16_e32 v32, v71, v32
	v_fma_f16 v33, v84, s14, v165
	v_fma_f16 v182, v83, s31, v181
	v_mul_f16_e32 v183, 0x2de8, v110
	v_add_f16_e32 v32, v33, v32
	v_fma_f16 v33, v86, s36, v166
	v_add_f16_e32 v182, v71, v182
	v_fma_f16 v184, v84, s29, v183
	;; [unrolled: 2-line block ×3, first 2 shown]
	v_add_f16_e32 v182, v184, v182
	v_mul_f16_e32 v184, 0xb8d2, v112
	v_add_f16_e32 v32, v33, v32
	v_fma_f16 v33, v88, s31, v168
	v_fma_f16 v185, v86, s33, v184
	v_add_f16_e32 v32, v33, v32
	v_fma_f16 v33, v89, s19, v169
	v_add_f16_e32 v182, v185, v182
	v_mul_f16_e32 v185, 0xbbdd, v114
	v_add_f16_e32 v32, v33, v32
	v_fma_f16 v33, v90, s27, v170
	v_fma_f16 v186, v87, s36, v185
	v_add_f16_e32 v32, v33, v32
	v_fma_f16 v33, v91, s17, v171
	v_add_f16_e32 v182, v186, v182
	v_mul_f16_e32 v186, 0xbacd, v116
	v_add_f16_e32 v32, v33, v32
	v_fma_f16 v33, v92, s24, -v172
	v_fma_f16 v187, v88, s17, v186
	v_add_f16_e32 v33, v29, v33
	v_fma_f16 v34, v93, s4, -v174
	v_add_f16_e32 v182, v187, v182
	v_mul_f16_e32 v187, 0xb461, v118
	v_add_f16_e32 v33, v34, v33
	v_fma_f16 v34, v94, s20, -v175
	v_fma_f16 v188, v89, s28, v187
	v_add_f16_e32 v33, v34, v33
	v_fma_f16 v34, v96, s5, -v176
	;; [unrolled: 7-line block ×4, first 2 shown]
	v_add_f16_e32 v182, v190, v182
	v_mul_f16_e32 v190, 0xb964, v123
	v_add_f16_e32 v33, v34, v33
	v_fma_f16 v34, v83, s25, v181
	v_fma_f16 v191, v92, s21, v190
	v_mul_f16_e32 v192, 0xbbf7, v125
	v_add_f16_e32 v34, v71, v34
	v_fma_f16 v35, v84, s27, v183
	v_add_f16_e32 v191, v29, v191
	v_fma_f16 v193, v93, s18, v192
	;; [unrolled: 2-line block ×3, first 2 shown]
	v_add_f16_e32 v191, v193, v191
	v_mul_f16_e32 v193, 0xba62, v127
	v_add_f16_e32 v34, v35, v34
	v_fma_f16 v35, v87, s22, v185
	v_fma_f16 v194, v94, s4, v193
	v_add_f16_e32 v34, v35, v34
	v_fma_f16 v35, v88, s35, v186
	v_add_f16_e32 v191, v194, v191
	v_mul_f16_e32 v194, 0xb1e1, v129
	v_add_f16_e32 v34, v35, v34
	v_fma_f16 v35, v89, s23, v187
	v_fma_f16 v195, v96, s20, v194
	v_add_f16_e32 v34, v35, v34
	v_fma_f16 v35, v90, s26, v188
	v_add_f16_e32 v191, v195, v191
	v_mul_f16_e32 v195, 0x3836, v131
	v_add_f16_e32 v34, v35, v34
	v_fma_f16 v35, v91, s30, v189
	v_fma_f16 v196, v97, s15, v195
	v_add_f16_e32 v34, v35, v34
	v_fma_f16 v35, v92, s21, -v190
	v_add_f16_e32 v191, v196, v191
	v_mul_f16_e32 v196, 0x3bb2, v133
	v_add_f16_e32 v35, v29, v35
	v_fma_f16 v36, v93, s18, -v192
	v_fma_f16 v197, v98, s5, v196
	v_add_f16_e32 v35, v36, v35
	v_fma_f16 v36, v94, s4, -v193
	v_add_f16_e32 v191, v197, v191
	v_mul_f16_e32 v197, 0x3b29, v135
	v_add_f16_e32 v35, v36, v35
	v_fma_f16 v36, v96, s20, -v194
	;; [unrolled: 7-line block ×3, first 2 shown]
	v_fma_f16 v199, v100, s16, v198
	v_mul_f16_e32 v108, 0x3b76, v108
	v_add_f16_e32 v35, v36, v35
	v_fma_f16 v36, v99, s24, -v197
	v_add_f16_e32 v191, v199, v191
	v_fma_f16 v199, v83, s30, v108
	v_mul_f16_e32 v110, 0x39e9, v110
	v_add_f16_e32 v35, v36, v35
	v_fma_f16 v36, v100, s16, -v198
	v_add_f16_e32 v199, v71, v199
	v_fma_f16 v200, v84, s31, v110
	v_mul_f16_e32 v112, 0x3722, v112
	v_add_f16_e32 v10, v72, v71
	v_add_f16_e32 v35, v36, v35
	v_fma_f16 v36, v83, s19, v108
	v_add_f16_e32 v199, v200, v199
	v_fma_f16 v200, v86, s26, v112
	v_mul_f16_e32 v114, 0x2de8, v114
	v_add_f16_e32 v10, v73, v10
	v_add_f16_e32 v36, v71, v36
	v_fma_f16 v37, v84, s25, v110
	;; [unrolled: 6-line block ×8, first 2 shown]
	v_add_f16_e32 v200, v29, v200
	v_fma_f16 v201, v93, s21, v125
	v_mul_f16_e32 v127, 0xbb29, v127
	v_add_f16_e32 v10, v80, v10
	v_add_f16_e32 v36, v37, v36
	v_fma_f16 v37, v92, s16, -v123
	v_add_f16_e32 v200, v201, v200
	v_fma_f16 v201, v94, s24, v127
	v_mul_f16_e32 v129, 0xbbf7, v129
	v_add_f16_e32 v10, v81, v10
	v_add_f16_e32 v29, v29, v37
	v_fma_f16 v37, v93, s21, -v125
	;; [unrolled: 6-line block ×6, first 2 shown]
	v_add_f16_e32 v200, v201, v200
	v_fma_f16 v201, v100, s20, v137
	v_add_f16_e32 v10, v47, v10
	v_add_f16_e32 v29, v37, v29
	v_fma_f16 v37, v99, s15, -v135
	v_add_f16_e32 v200, v201, v200
	v_add_f16_e32 v9, v46, v9
	;; [unrolled: 1-line block ×4, first 2 shown]
	v_fma_f16 v37, v100, s20, -v137
	v_add_f16_e32 v29, v37, v29
	v_lshlrev_b32_e32 v37, 2, v45
	v_pack_b32_f16 v38, v200, v199
	v_pack_b32_f16 v9, v9, v10
	ds_write2_b32 v37, v9, v38 offset1:1
	v_pack_b32_f16 v9, v173, v164
	v_pack_b32_f16 v10, v191, v182
	ds_write2_b32 v37, v10, v9 offset0:2 offset1:3
	v_pack_b32_f16 v9, v132, v113
	v_pack_b32_f16 v10, v155, v146
	ds_write2_b32 v37, v10, v9 offset0:4 offset1:5
	v_pack_b32_f16 v9, v140, v139
	v_pack_b32_f16 v10, v109, v107
	ds_write2_b32 v37, v10, v9 offset0:6 offset1:7
	v_pack_b32_f16 v9, v104, v103
	v_pack_b32_f16 v10, v106, v105
	ds_write2_b32 v37, v10, v9 offset0:8 offset1:9
	v_pack_b32_f16 v9, v95, v85
	v_pack_b32_f16 v10, v102, v101
	ds_write2_b32 v37, v10, v9 offset0:10 offset1:11
	v_pack_b32_f16 v9, v31, v30
	v_pack_b32_f16 v10, v12, v11
	ds_write2_b32 v37, v10, v9 offset0:12 offset1:13
	v_pack_b32_f16 v9, v35, v34
	v_pack_b32_f16 v10, v33, v32
	ds_write2_b32 v37, v10, v9 offset0:14 offset1:15
	v_pack_b32_f16 v9, v29, v36
	ds_write_b32 v37, v9 offset:64
.LBB0_13:
	s_or_b64 exec, exec, s[2:3]
	v_add_u32_e32 v9, 0x800, v44
	s_waitcnt lgkmcnt(0)
	s_barrier
	ds_read2_b32 v[32:33], v9 offset0:100 offset1:253
	v_add_u32_e32 v10, 0x1200, v44
	ds_read2_b32 v[34:35], v10 offset0:72 offset1:225
	v_add_u32_e32 v11, 0xe00, v44
	ds_read2_b32 v[38:39], v11 offset0:22 offset1:175
	s_waitcnt lgkmcnt(2)
	v_lshrrev_b32_e32 v47, 16, v32
	v_mul_f16_sdwa v77, v13, v47 dst_sel:DWORD dst_unused:UNUSED_PAD src0_sel:WORD_1 src1_sel:DWORD
	s_waitcnt lgkmcnt(1)
	v_lshrrev_b32_e32 v48, 16, v34
	v_fma_f16 v77, v13, v32, v77
	v_mul_f16_sdwa v32, v13, v32 dst_sel:DWORD dst_unused:UNUSED_PAD src0_sel:WORD_1 src1_sel:DWORD
	v_fma_f16 v13, v13, v47, -v32
	v_mul_f16_sdwa v32, v14, v48 dst_sel:DWORD dst_unused:UNUSED_PAD src0_sel:WORD_1 src1_sel:DWORD
	v_add_u32_e32 v29, 0x1700, v44
	v_lshrrev_b32_e32 v50, 16, v33
	v_fma_f16 v32, v14, v34, v32
	v_mul_f16_sdwa v34, v14, v34 dst_sel:DWORD dst_unused:UNUSED_PAD src0_sel:WORD_1 src1_sel:DWORD
	ds_read2_b32 v[45:46], v29 offset0:58 offset1:211
	v_fma_f16 v14, v14, v48, -v34
	v_mul_f16_sdwa v34, v15, v50 dst_sel:DWORD dst_unused:UNUSED_PAD src0_sel:WORD_1 src1_sel:DWORD
	v_lshrrev_b32_e32 v51, 16, v35
	v_fma_f16 v34, v15, v33, v34
	v_mul_f16_sdwa v33, v15, v33 dst_sel:DWORD dst_unused:UNUSED_PAD src0_sel:WORD_1 src1_sel:DWORD
	v_fma_f16 v15, v15, v50, -v33
	v_mul_f16_sdwa v33, v16, v51 dst_sel:DWORD dst_unused:UNUSED_PAD src0_sel:WORD_1 src1_sel:DWORD
	s_waitcnt lgkmcnt(1)
	v_lshrrev_b32_e32 v72, 16, v38
	v_fma_f16 v33, v16, v35, v33
	v_mul_f16_sdwa v35, v16, v35 dst_sel:DWORD dst_unused:UNUSED_PAD src0_sel:WORD_1 src1_sel:DWORD
	v_fma_f16 v16, v16, v51, -v35
	v_mul_f16_sdwa v35, v19, v72 dst_sel:DWORD dst_unused:UNUSED_PAD src0_sel:WORD_1 src1_sel:DWORD
	s_waitcnt lgkmcnt(0)
	v_lshrrev_b32_e32 v73, 16, v45
	v_fma_f16 v35, v19, v38, v35
	v_mul_f16_sdwa v38, v19, v38 dst_sel:DWORD dst_unused:UNUSED_PAD src0_sel:WORD_1 src1_sel:DWORD
	v_fma_f16 v19, v19, v72, -v38
	v_mul_f16_sdwa v38, v20, v73 dst_sel:DWORD dst_unused:UNUSED_PAD src0_sel:WORD_1 src1_sel:DWORD
	ds_read2_b32 v[30:31], v44 offset1:153
	v_lshrrev_b32_e32 v75, 16, v39
	v_fma_f16 v38, v20, v45, v38
	v_mul_f16_sdwa v45, v20, v45 dst_sel:DWORD dst_unused:UNUSED_PAD src0_sel:WORD_1 src1_sel:DWORD
	v_fma_f16 v20, v20, v73, -v45
	v_mul_f16_sdwa v45, v17, v75 dst_sel:DWORD dst_unused:UNUSED_PAD src0_sel:WORD_1 src1_sel:DWORD
	v_lshrrev_b32_e32 v76, 16, v46
	v_fma_f16 v45, v17, v39, v45
	v_mul_f16_sdwa v39, v17, v39 dst_sel:DWORD dst_unused:UNUSED_PAD src0_sel:WORD_1 src1_sel:DWORD
	v_fma_f16 v17, v17, v75, -v39
	v_mul_f16_sdwa v39, v18, v76 dst_sel:DWORD dst_unused:UNUSED_PAD src0_sel:WORD_1 src1_sel:DWORD
	v_fma_f16 v39, v18, v46, v39
	v_mul_f16_sdwa v46, v18, v46 dst_sel:DWORD dst_unused:UNUSED_PAD src0_sel:WORD_1 src1_sel:DWORD
	v_add_f16_e32 v47, v77, v32
	s_waitcnt lgkmcnt(0)
	v_lshrrev_b32_e32 v40, 16, v30
	v_add_u32_e32 v12, 0x400, v44
	v_fma_f16 v18, v18, v76, -v46
	v_add_f16_e32 v46, v30, v77
	v_fma_f16 v30, v47, -0.5, v30
	v_sub_f16_e32 v47, v13, v14
	s_mov_b32 s3, 0xbaee
	s_movk_i32 s2, 0x3aee
	ds_read2_b32 v[36:37], v12 offset0:50 offset1:203
	v_fma_f16 v48, v47, s3, v30
	v_fma_f16 v30, v47, s2, v30
	v_add_f16_e32 v47, v40, v13
	v_add_f16_e32 v13, v13, v14
	;; [unrolled: 1-line block ×3, first 2 shown]
	v_fma_f16 v13, v13, -0.5, v40
	v_sub_f16_e32 v14, v77, v32
	v_add_f16_e32 v40, v34, v33
	v_lshrrev_b32_e32 v49, 16, v31
	v_add_f16_e32 v46, v46, v32
	v_fma_f16 v32, v14, s2, v13
	v_fma_f16 v13, v14, s3, v13
	v_add_f16_e32 v14, v31, v34
	v_fma_f16 v31, v40, -0.5, v31
	v_sub_f16_e32 v40, v15, v16
	v_fma_f16 v50, v40, s3, v31
	v_fma_f16 v31, v40, s2, v31
	v_add_f16_e32 v40, v49, v15
	v_add_f16_e32 v15, v15, v16
	;; [unrolled: 1-line block ×3, first 2 shown]
	v_fma_f16 v15, v15, -0.5, v49
	v_sub_f16_e32 v16, v34, v33
	v_add_f16_e32 v34, v35, v38
	s_waitcnt lgkmcnt(0)
	v_lshrrev_b32_e32 v71, 16, v36
	v_add_f16_e32 v14, v14, v33
	v_fma_f16 v33, v16, s2, v15
	v_fma_f16 v15, v16, s3, v15
	v_add_f16_e32 v16, v36, v35
	v_fma_f16 v34, v34, -0.5, v36
	v_sub_f16_e32 v36, v19, v20
	v_fma_f16 v49, v36, s3, v34
	v_fma_f16 v34, v36, s2, v34
	v_add_f16_e32 v36, v71, v19
	v_add_f16_e32 v19, v19, v20
	;; [unrolled: 1-line block ×4, first 2 shown]
	v_fma_f16 v19, v19, -0.5, v71
	v_sub_f16_e32 v20, v35, v38
	v_add_f16_e32 v38, v45, v39
	v_lshrrev_b32_e32 v74, 16, v37
	v_fma_f16 v35, v20, s2, v19
	v_fma_f16 v19, v20, s3, v19
	v_add_f16_e32 v20, v37, v45
	v_fma_f16 v37, v38, -0.5, v37
	v_sub_f16_e32 v38, v17, v18
	v_fma_f16 v51, v38, s3, v37
	v_fma_f16 v37, v38, s2, v37
	v_add_f16_e32 v38, v74, v17
	v_add_f16_e32 v17, v17, v18
	;; [unrolled: 1-line block ×3, first 2 shown]
	v_fma_f16 v17, v17, -0.5, v74
	v_sub_f16_e32 v18, v45, v39
	v_pack_b32_f16 v13, v30, v13
	v_add_f16_e32 v20, v20, v39
	v_fma_f16 v39, v18, s2, v17
	v_fma_f16 v17, v18, s3, v17
	s_barrier
	v_pack_b32_f16 v18, v46, v47
	v_pack_b32_f16 v32, v48, v32
	ds_write_b32 v52, v13 offset:136
	v_pack_b32_f16 v13, v14, v40
	v_pack_b32_f16 v14, v50, v33
	ds_write2_b32 v52, v18, v32 offset1:17
	ds_write2_b32 v53, v13, v14 offset1:17
	v_pack_b32_f16 v13, v31, v15
	ds_write_b32 v53, v13 offset:136
	v_pack_b32_f16 v13, v16, v36
	v_pack_b32_f16 v14, v49, v35
	ds_write2_b32 v54, v13, v14 offset1:17
	v_pack_b32_f16 v13, v34, v19
	ds_write_b32 v54, v13 offset:136
	v_pack_b32_f16 v13, v20, v38
	v_pack_b32_f16 v14, v51, v39
	ds_write2_b32 v55, v13, v14 offset1:17
	v_pack_b32_f16 v13, v37, v17
	ds_write_b32 v55, v13 offset:136
	s_waitcnt lgkmcnt(0)
	s_barrier
	ds_read2_b32 v[13:14], v44 offset1:153
	ds_read2_b32 v[15:16], v9 offset0:100 offset1:253
	ds_read2_b32 v[17:18], v10 offset0:72 offset1:225
	;; [unrolled: 1-line block ×5, first 2 shown]
	s_waitcnt lgkmcnt(0)
	v_lshrrev_b32_e32 v34, 16, v13
	v_lshrrev_b32_e32 v35, 16, v15
	v_mul_f16_sdwa v50, v21, v35 dst_sel:DWORD dst_unused:UNUSED_PAD src0_sel:WORD_1 src1_sel:DWORD
	v_lshrrev_b32_e32 v36, 16, v17
	v_fma_f16 v50, v21, v15, v50
	v_mul_f16_sdwa v15, v21, v15 dst_sel:DWORD dst_unused:UNUSED_PAD src0_sel:WORD_1 src1_sel:DWORD
	v_fma_f16 v15, v21, v35, -v15
	v_mul_f16_sdwa v21, v22, v36 dst_sel:DWORD dst_unused:UNUSED_PAD src0_sel:WORD_1 src1_sel:DWORD
	v_lshrrev_b32_e32 v38, 16, v16
	v_fma_f16 v21, v22, v17, v21
	v_mul_f16_sdwa v17, v22, v17 dst_sel:DWORD dst_unused:UNUSED_PAD src0_sel:WORD_1 src1_sel:DWORD
	v_fma_f16 v17, v22, v36, -v17
	;; [unrolled: 5-line block ×7, first 2 shown]
	v_mul_f16_sdwa v31, v28, v49 dst_sel:DWORD dst_unused:UNUSED_PAD src0_sel:WORD_1 src1_sel:DWORD
	v_fma_f16 v31, v28, v33, v31
	v_mul_f16_sdwa v33, v28, v33 dst_sel:DWORD dst_unused:UNUSED_PAD src0_sel:WORD_1 src1_sel:DWORD
	v_add_f16_e32 v35, v50, v21
	v_fma_f16 v28, v28, v49, -v33
	v_add_f16_e32 v33, v13, v50
	v_fma_f16 v13, v35, -0.5, v13
	v_sub_f16_e32 v35, v15, v17
	v_fma_f16 v36, v35, s3, v13
	v_fma_f16 v13, v35, s2, v13
	v_add_f16_e32 v35, v34, v15
	v_add_f16_e32 v15, v15, v17
	;; [unrolled: 1-line block ×3, first 2 shown]
	v_fma_f16 v15, v15, -0.5, v34
	v_sub_f16_e32 v17, v50, v21
	v_add_f16_e32 v34, v22, v23
	v_lshrrev_b32_e32 v37, 16, v14
	v_add_f16_e32 v33, v33, v21
	v_fma_f16 v21, v17, s2, v15
	v_fma_f16 v15, v17, s3, v15
	v_add_f16_e32 v17, v14, v22
	v_fma_f16 v14, v34, -0.5, v14
	v_sub_f16_e32 v34, v16, v18
	v_fma_f16 v38, v34, s3, v14
	v_fma_f16 v14, v34, s2, v14
	v_add_f16_e32 v34, v37, v16
	v_add_f16_e32 v16, v16, v18
	;; [unrolled: 1-line block ×4, first 2 shown]
	v_fma_f16 v16, v16, -0.5, v37
	v_sub_f16_e32 v18, v22, v23
	v_add_f16_e32 v23, v24, v30
	v_lshrrev_b32_e32 v40, 16, v19
	v_fma_f16 v22, v18, s2, v16
	v_fma_f16 v16, v18, s3, v16
	v_add_f16_e32 v18, v19, v24
	v_fma_f16 v19, v23, -0.5, v19
	v_sub_f16_e32 v23, v25, v26
	v_fma_f16 v37, v23, s3, v19
	v_fma_f16 v19, v23, s2, v19
	v_add_f16_e32 v23, v40, v25
	v_add_f16_e32 v25, v25, v26
	;; [unrolled: 1-line block ×3, first 2 shown]
	v_fma_f16 v25, v25, -0.5, v40
	v_sub_f16_e32 v24, v24, v30
	v_add_f16_e32 v30, v32, v31
	v_lshrrev_b32_e32 v47, 16, v20
	v_add_f16_e32 v23, v23, v26
	v_fma_f16 v26, v24, s2, v25
	v_fma_f16 v24, v24, s3, v25
	v_add_f16_e32 v25, v20, v32
	v_fma_f16 v20, v30, -0.5, v20
	v_sub_f16_e32 v30, v27, v28
	v_fma_f16 v39, v30, s3, v20
	v_fma_f16 v20, v30, s2, v20
	v_add_f16_e32 v30, v47, v27
	v_add_f16_e32 v27, v27, v28
	;; [unrolled: 1-line block ×3, first 2 shown]
	v_fma_f16 v27, v27, -0.5, v47
	v_sub_f16_e32 v28, v32, v31
	v_pack_b32_f16 v13, v13, v15
	v_add_f16_e32 v25, v25, v31
	v_fma_f16 v31, v28, s2, v27
	v_fma_f16 v27, v28, s3, v27
	s_barrier
	v_pack_b32_f16 v28, v33, v35
	v_pack_b32_f16 v21, v36, v21
	ds_write_b32 v61, v13 offset:408
	v_pack_b32_f16 v13, v17, v34
	v_pack_b32_f16 v15, v38, v22
	ds_write2_b32 v61, v28, v21 offset1:51
	ds_write2_b32 v62, v13, v15 offset1:51
	v_pack_b32_f16 v13, v14, v16
	ds_write_b32 v62, v13 offset:408
	v_pack_b32_f16 v13, v18, v23
	v_pack_b32_f16 v14, v37, v26
	ds_write2_b32 v63, v13, v14 offset1:51
	v_pack_b32_f16 v13, v19, v24
	ds_write_b32 v63, v13 offset:408
	v_pack_b32_f16 v13, v25, v30
	v_pack_b32_f16 v14, v39, v31
	ds_write2_b32 v64, v13, v14 offset1:51
	v_pack_b32_f16 v13, v20, v27
	ds_write_b32 v64, v13 offset:408
	s_waitcnt lgkmcnt(0)
	s_barrier
	ds_read2_b32 v[13:14], v44 offset1:153
	ds_read2_b32 v[15:16], v11 offset0:22 offset1:175
	ds_read2_b32 v[19:20], v10 offset0:72 offset1:225
	;; [unrolled: 1-line block ×5, first 2 shown]
	s_waitcnt lgkmcnt(5)
	v_lshrrev_b32_e32 v25, 16, v13
	s_waitcnt lgkmcnt(4)
	v_lshrrev_b32_e32 v26, 16, v15
	v_mul_f16_sdwa v38, v60, v26 dst_sel:DWORD dst_unused:UNUSED_PAD src0_sel:WORD_1 src1_sel:DWORD
	v_lshrrev_b32_e32 v28, 16, v16
	v_fma_f16 v38, v60, v15, v38
	v_mul_f16_sdwa v15, v60, v15 dst_sel:DWORD dst_unused:UNUSED_PAD src0_sel:WORD_1 src1_sel:DWORD
	v_fma_f16 v15, v60, v26, -v15
	v_mul_f16_sdwa v26, v60, v28 dst_sel:DWORD dst_unused:UNUSED_PAD src0_sel:WORD_1 src1_sel:DWORD
	s_waitcnt lgkmcnt(3)
	v_lshrrev_b32_e32 v31, 16, v19
	v_fma_f16 v26, v60, v16, v26
	v_mul_f16_sdwa v16, v60, v16 dst_sel:DWORD dst_unused:UNUSED_PAD src0_sel:WORD_1 src1_sel:DWORD
	v_fma_f16 v16, v60, v28, -v16
	v_mul_f16_sdwa v28, v66, v31 dst_sel:DWORD dst_unused:UNUSED_PAD src0_sel:WORD_1 src1_sel:DWORD
	v_lshrrev_b32_e32 v33, 16, v20
	v_fma_f16 v28, v66, v19, v28
	v_mul_f16_sdwa v19, v66, v19 dst_sel:DWORD dst_unused:UNUSED_PAD src0_sel:WORD_1 src1_sel:DWORD
	v_fma_f16 v19, v66, v31, -v19
	v_mul_f16_sdwa v31, v67, v33 dst_sel:DWORD dst_unused:UNUSED_PAD src0_sel:WORD_1 src1_sel:DWORD
	s_waitcnt lgkmcnt(0)
	v_lshrrev_b32_e32 v35, 16, v23
	v_fma_f16 v31, v67, v20, v31
	v_mul_f16_sdwa v20, v67, v20 dst_sel:DWORD dst_unused:UNUSED_PAD src0_sel:WORD_1 src1_sel:DWORD
	v_fma_f16 v20, v67, v33, -v20
	v_mul_f16_sdwa v33, v65, v35 dst_sel:DWORD dst_unused:UNUSED_PAD src0_sel:WORD_1 src1_sel:DWORD
	v_lshrrev_b32_e32 v37, 16, v24
	v_fma_f16 v33, v65, v23, v33
	v_mul_f16_sdwa v23, v65, v23 dst_sel:DWORD dst_unused:UNUSED_PAD src0_sel:WORD_1 src1_sel:DWORD
	v_fma_f16 v23, v65, v35, -v23
	v_mul_f16_sdwa v35, v68, v37 dst_sel:DWORD dst_unused:UNUSED_PAD src0_sel:WORD_1 src1_sel:DWORD
	v_fma_f16 v35, v68, v24, v35
	v_mul_f16_sdwa v24, v68, v24 dst_sel:DWORD dst_unused:UNUSED_PAD src0_sel:WORD_1 src1_sel:DWORD
	v_lshrrev_b32_e32 v27, 16, v14
	v_fma_f16 v24, v68, v37, -v24
	v_sub_f16_e32 v37, v13, v38
	v_sub_f16_e32 v15, v25, v15
	v_lshrrev_b32_e32 v30, 16, v17
	v_fma_f16 v13, v13, 2.0, -v37
	v_fma_f16 v25, v25, 2.0, -v15
	v_sub_f16_e32 v26, v14, v26
	v_sub_f16_e32 v16, v27, v16
	v_lshrrev_b32_e32 v32, 16, v18
	v_fma_f16 v14, v14, 2.0, -v26
	v_fma_f16 v27, v27, 2.0, -v16
	v_sub_f16_e32 v28, v17, v28
	v_sub_f16_e32 v19, v30, v19
	v_pack_b32_f16 v13, v13, v25
	v_pack_b32_f16 v15, v37, v15
	v_lshrrev_b32_e32 v34, 16, v21
	v_fma_f16 v17, v17, 2.0, -v28
	v_fma_f16 v30, v30, 2.0, -v19
	v_sub_f16_e32 v31, v18, v31
	v_sub_f16_e32 v20, v32, v20
	s_barrier
	ds_write2_b32 v44, v13, v15 offset1:153
	v_pack_b32_f16 v13, v14, v27
	v_pack_b32_f16 v14, v26, v16
	v_lshrrev_b32_e32 v36, 16, v22
	v_fma_f16 v18, v18, 2.0, -v31
	v_fma_f16 v32, v32, 2.0, -v20
	v_sub_f16_e32 v33, v21, v33
	v_sub_f16_e32 v23, v34, v23
	ds_write2_b32 v12, v13, v14 offset0:50 offset1:203
	v_pack_b32_f16 v13, v17, v30
	v_pack_b32_f16 v14, v28, v19
	v_add_u32_e32 v15, 0x800, v56
	v_fma_f16 v21, v21, 2.0, -v33
	v_fma_f16 v34, v34, 2.0, -v23
	v_sub_f16_e32 v35, v22, v35
	v_sub_f16_e32 v24, v36, v24
	ds_write2_b32 v15, v13, v14 offset0:100 offset1:253
	v_pack_b32_f16 v13, v18, v32
	v_pack_b32_f16 v14, v31, v20
	v_add_u32_e32 v15, 0xe00, v57
	v_fma_f16 v22, v22, 2.0, -v35
	v_fma_f16 v36, v36, 2.0, -v24
	ds_write2_b32 v15, v13, v14 offset0:22 offset1:175
	v_pack_b32_f16 v13, v21, v34
	v_pack_b32_f16 v14, v33, v23
	v_add_u32_e32 v15, 0x1200, v58
	ds_write2_b32 v15, v13, v14 offset0:72 offset1:225
	v_pack_b32_f16 v13, v22, v36
	v_pack_b32_f16 v14, v35, v24
	v_add_u32_e32 v15, 0x1700, v59
	ds_write2_b32 v15, v13, v14 offset0:58 offset1:211
	s_waitcnt lgkmcnt(0)
	s_barrier
	ds_read2_b32 v[13:14], v44 offset1:153
	ds_read2_b32 v[15:16], v12 offset0:50 offset1:203
	ds_read2_b32 v[17:18], v9 offset0:100 offset1:253
	;; [unrolled: 1-line block ×5, first 2 shown]
	s_waitcnt lgkmcnt(4)
	v_lshrrev_b32_e32 v26, 16, v15
	v_mul_f16_sdwa v38, v0, v26 dst_sel:DWORD dst_unused:UNUSED_PAD src0_sel:WORD_1 src1_sel:DWORD
	s_waitcnt lgkmcnt(3)
	v_lshrrev_b32_e32 v27, 16, v17
	v_fma_f16 v38, v0, v15, v38
	v_mul_f16_sdwa v15, v0, v15 dst_sel:DWORD dst_unused:UNUSED_PAD src0_sel:WORD_1 src1_sel:DWORD
	v_fma_f16 v0, v0, v26, -v15
	v_mul_f16_sdwa v15, v1, v27 dst_sel:DWORD dst_unused:UNUSED_PAD src0_sel:WORD_1 src1_sel:DWORD
	s_waitcnt lgkmcnt(2)
	v_lshrrev_b32_e32 v28, 16, v19
	v_fma_f16 v15, v1, v17, v15
	v_mul_f16_sdwa v17, v1, v17 dst_sel:DWORD dst_unused:UNUSED_PAD src0_sel:WORD_1 src1_sel:DWORD
	v_fma_f16 v1, v1, v27, -v17
	;; [unrolled: 6-line block ×3, first 2 shown]
	v_mul_f16_sdwa v19, v3, v30 dst_sel:DWORD dst_unused:UNUSED_PAD src0_sel:WORD_1 src1_sel:DWORD
	v_fma_f16 v19, v3, v21, v19
	v_mul_f16_sdwa v21, v3, v21 dst_sel:DWORD dst_unused:UNUSED_PAD src0_sel:WORD_1 src1_sel:DWORD
	s_waitcnt lgkmcnt(0)
	v_lshrrev_b32_e32 v31, 16, v23
	v_fma_f16 v3, v3, v30, -v21
	v_add_f16_e32 v28, v15, v19
	v_lshrrev_b32_e32 v25, 16, v13
	v_lshrrev_b32_e32 v33, 16, v16
	v_mul_f16_sdwa v21, v69, v31 dst_sel:DWORD dst_unused:UNUSED_PAD src0_sel:WORD_1 src1_sel:DWORD
	v_add_f16_e32 v27, v13, v15
	v_fma_f16 v13, v28, -0.5, v13
	v_sub_f16_e32 v28, v1, v3
	v_fma_f16 v21, v69, v23, v21
	v_mul_f16_sdwa v23, v69, v23 dst_sel:DWORD dst_unused:UNUSED_PAD src0_sel:WORD_1 src1_sel:DWORD
	v_mul_f16_sdwa v26, v4, v33 dst_sel:DWORD dst_unused:UNUSED_PAD src0_sel:WORD_1 src1_sel:DWORD
	v_fma_f16 v30, v28, s3, v13
	v_fma_f16 v13, v28, s2, v13
	v_add_f16_e32 v28, v25, v1
	v_lshrrev_b32_e32 v34, 16, v18
	v_fma_f16 v23, v69, v31, -v23
	v_fma_f16 v26, v4, v16, v26
	v_mul_f16_sdwa v16, v4, v16 dst_sel:DWORD dst_unused:UNUSED_PAD src0_sel:WORD_1 src1_sel:DWORD
	v_add_f16_e32 v27, v27, v19
	v_add_f16_e32 v28, v28, v3
	v_add_f16_e32 v1, v1, v3
	v_sub_f16_e32 v3, v15, v19
	v_add_f16_e32 v19, v17, v21
	v_fma_f16 v4, v4, v33, -v16
	v_mul_f16_sdwa v16, v5, v34 dst_sel:DWORD dst_unused:UNUSED_PAD src0_sel:WORD_1 src1_sel:DWORD
	v_fma_f16 v1, v1, -0.5, v25
	v_fma_f16 v19, v19, -0.5, v38
	v_sub_f16_e32 v25, v2, v23
	v_lshrrev_b32_e32 v35, 16, v20
	v_fma_f16 v16, v5, v18, v16
	v_mul_f16_sdwa v18, v5, v18 dst_sel:DWORD dst_unused:UNUSED_PAD src0_sel:WORD_1 src1_sel:DWORD
	v_fma_f16 v31, v25, s3, v19
	v_fma_f16 v19, v25, s2, v19
	v_add_f16_e32 v25, v0, v2
	v_add_f16_e32 v2, v2, v23
	v_fma_f16 v5, v5, v34, -v18
	v_mul_f16_sdwa v18, v6, v35 dst_sel:DWORD dst_unused:UNUSED_PAD src0_sel:WORD_1 src1_sel:DWORD
	v_fma_f16 v0, v2, -0.5, v0
	v_sub_f16_e32 v2, v17, v21
	v_lshrrev_b32_e32 v36, 16, v22
	v_fma_f16 v18, v6, v20, v18
	v_mul_f16_sdwa v20, v6, v20 dst_sel:DWORD dst_unused:UNUSED_PAD src0_sel:WORD_1 src1_sel:DWORD
	v_fma_f16 v15, v3, s2, v1
	v_fma_f16 v1, v3, s3, v1
	v_add_f16_e32 v3, v38, v17
	v_fma_f16 v17, v2, s2, v0
	v_fma_f16 v6, v6, v35, -v20
	v_mul_f16_sdwa v20, v7, v36 dst_sel:DWORD dst_unused:UNUSED_PAD src0_sel:WORD_1 src1_sel:DWORD
	v_add_f16_e32 v3, v3, v21
	v_fma_f16 v0, v2, s3, v0
	v_mul_f16_e32 v21, 0xbaee, v17
	v_mul_f16_e32 v17, 0.5, v17
	v_fma_f16 v20, v7, v22, v20
	v_mul_f16_sdwa v22, v7, v22 dst_sel:DWORD dst_unused:UNUSED_PAD src0_sel:WORD_1 src1_sel:DWORD
	v_mul_f16_e32 v33, 0xbaee, v0
	v_fma_f16 v17, v31, s2, v17
	v_mul_f16_e32 v0, -0.5, v0
	v_lshrrev_b32_e32 v37, 16, v24
	v_fma_f16 v7, v7, v36, -v22
	v_fma_f16 v21, v31, 0.5, v21
	v_add_f16_e32 v31, v15, v17
	v_fma_f16 v0, v19, s2, v0
	v_sub_f16_e32 v15, v15, v17
	v_add_f16_e32 v17, v16, v20
	v_lshrrev_b32_e32 v32, 16, v14
	v_mul_f16_sdwa v22, v70, v37 dst_sel:DWORD dst_unused:UNUSED_PAD src0_sel:WORD_1 src1_sel:DWORD
	v_fma_f16 v33, v19, -0.5, v33
	v_add_f16_e32 v19, v1, v0
	v_sub_f16_e32 v0, v1, v0
	v_add_f16_e32 v1, v14, v16
	v_fma_f16 v14, v17, -0.5, v14
	v_sub_f16_e32 v17, v5, v7
	v_fma_f16 v22, v70, v24, v22
	v_mul_f16_sdwa v24, v70, v24 dst_sel:DWORD dst_unused:UNUSED_PAD src0_sel:WORD_1 src1_sel:DWORD
	v_add_f16_e32 v2, v27, v3
	v_sub_f16_e32 v3, v27, v3
	v_fma_f16 v27, v17, s3, v14
	v_fma_f16 v14, v17, s2, v14
	v_add_f16_e32 v17, v32, v5
	v_add_f16_e32 v5, v5, v7
	v_fma_f16 v24, v70, v37, -v24
	v_add_f16_e32 v1, v1, v20
	v_add_f16_e32 v17, v17, v7
	v_fma_f16 v5, v5, -0.5, v32
	v_sub_f16_e32 v7, v16, v20
	v_add_f16_e32 v20, v18, v22
	v_add_f16_e32 v25, v25, v23
	v_fma_f16 v16, v7, s2, v5
	v_fma_f16 v5, v7, s3, v5
	v_add_f16_e32 v7, v26, v18
	v_fma_f16 v20, v20, -0.5, v26
	v_sub_f16_e32 v26, v6, v24
	v_add_f16_e32 v35, v28, v25
	v_sub_f16_e32 v25, v28, v25
	v_fma_f16 v28, v26, s3, v20
	v_fma_f16 v20, v26, s2, v20
	v_add_f16_e32 v26, v4, v6
	v_add_f16_e32 v6, v6, v24
	v_fma_f16 v4, v6, -0.5, v4
	v_sub_f16_e32 v6, v18, v22
	v_fma_f16 v18, v6, s2, v4
	v_add_f16_e32 v7, v7, v22
	v_add_f16_e32 v26, v26, v24
	v_fma_f16 v4, v6, s3, v4
	v_mul_f16_e32 v22, 0xbaee, v18
	v_mul_f16_e32 v18, 0.5, v18
	v_add_f16_e32 v23, v30, v21
	v_add_f16_e32 v34, v13, v33
	v_sub_f16_e32 v21, v30, v21
	v_sub_f16_e32 v13, v13, v33
	v_add_f16_e32 v6, v1, v7
	v_fma_f16 v22, v28, 0.5, v22
	v_mul_f16_e32 v30, 0xbaee, v4
	v_add_f16_e32 v33, v17, v26
	v_fma_f16 v18, v28, s2, v18
	v_mul_f16_e32 v4, -0.5, v4
	v_sub_f16_e32 v1, v1, v7
	v_sub_f16_e32 v17, v17, v26
	v_add_f16_e32 v24, v27, v22
	v_fma_f16 v30, v20, -0.5, v30
	v_add_f16_e32 v28, v16, v18
	v_fma_f16 v4, v20, s2, v4
	v_sub_f16_e32 v7, v27, v22
	v_sub_f16_e32 v16, v16, v18
	v_pack_b32_f16 v2, v2, v35
	v_pack_b32_f16 v3, v3, v25
	;; [unrolled: 1-line block ×4, first 2 shown]
	v_add_f16_e32 v32, v14, v30
	v_add_f16_e32 v20, v5, v4
	v_sub_f16_e32 v14, v14, v30
	v_sub_f16_e32 v4, v5, v4
	v_pack_b32_f16 v5, v23, v31
	v_pack_b32_f16 v15, v21, v15
	ds_write2_b32 v44, v2, v6 offset1:153
	v_pack_b32_f16 v2, v24, v28
	ds_write2_b32 v11, v3, v1 offset0:22 offset1:175
	v_pack_b32_f16 v1, v7, v16
	v_pack_b32_f16 v18, v34, v19
	;; [unrolled: 1-line block ×3, first 2 shown]
	ds_write2_b32 v12, v5, v2 offset0:50 offset1:203
	v_pack_b32_f16 v2, v32, v20
	ds_write2_b32 v10, v15, v1 offset0:72 offset1:225
	v_pack_b32_f16 v1, v14, v4
	ds_write2_b32 v9, v18, v2 offset0:100 offset1:253
	ds_write2_b32 v29, v0, v1 offset0:58 offset1:211
	s_waitcnt lgkmcnt(0)
	s_barrier
	s_and_b64 exec, exec, s[0:1]
	s_cbranch_execz .LBB0_15
; %bb.14:
	global_load_dword v9, v41, s[6:7]
	v_mad_u64_u32 v[0:1], s[0:1], s10, v8, 0
	v_mov_b32_e32 v2, 0x7c00
	v_mad_u64_u32 v[3:4], s[0:1], s8, v43, 0
	v_mad_u64_u32 v[5:6], s[0:1], s11, v8, v[1:2]
	ds_read_b32 v10, v44
	s_mov_b32 s14, 0x672e4abd
	v_mad_u64_u32 v[6:7], s[0:1], s9, v43, v[4:5]
	v_mov_b32_e32 v1, v5
	s_waitcnt lgkmcnt(0)
	v_lshrrev_b32_e32 v7, 16, v10
	v_mov_b32_e32 v4, v6
	v_lshlrev_b64 v[0:1], 2, v[0:1]
	s_mov_b32 s15, 0x3f41d8f5
	v_mov_b32_e32 v11, s13
	v_lshlrev_b64 v[3:4], 2, v[3:4]
	s_movk_i32 s16, 0x1ff
	s_movk_i32 s10, 0xffe
	;; [unrolled: 1-line block ×3, first 2 shown]
	s_mov_b32 s17, 0x8000
	s_waitcnt vmcnt(0)
	v_mul_f16_sdwa v5, v7, v9 dst_sel:DWORD dst_unused:UNUSED_PAD src0_sel:DWORD src1_sel:WORD_1
	v_fma_f16 v5, v10, v9, v5
	v_mul_f16_sdwa v6, v10, v9 dst_sel:DWORD dst_unused:UNUSED_PAD src0_sel:DWORD src1_sel:WORD_1
	v_cvt_f32_f16_e32 v5, v5
	v_fma_f16 v6, v9, v7, -v6
	v_cvt_f32_f16_e32 v7, v6
	v_add_co_u32_e32 v9, vcc, s12, v0
	v_cvt_f64_f32_e32 v[5:6], v5
	v_cvt_f64_f32_e32 v[7:8], v7
	v_addc_co_u32_e32 v10, vcc, v11, v1, vcc
	v_mul_f64 v[5:6], v[5:6], s[14:15]
	v_mul_f64 v[0:1], v[7:8], s[14:15]
	v_add_co_u32_e32 v3, vcc, v9, v3
	v_addc_co_u32_e32 v4, vcc, v10, v4, vcc
	v_and_or_b32 v5, v6, s16, v5
	v_and_or_b32 v0, v1, s16, v0
	v_cmp_ne_u32_e32 vcc, 0, v5
	v_lshrrev_b32_e32 v7, 8, v6
	v_bfe_u32 v8, v6, 20, 11
	v_cndmask_b32_e64 v5, 0, 1, vcc
	v_cmp_ne_u32_e32 vcc, 0, v0
	v_lshrrev_b32_e32 v9, 8, v1
	v_bfe_u32 v10, v1, 20, 11
	v_sub_u32_e32 v11, 0x3f1, v8
	v_cndmask_b32_e64 v0, 0, 1, vcc
	v_and_or_b32 v5, v7, s10, v5
	v_sub_u32_e32 v12, 0x3f1, v10
	v_med3_i32 v7, v11, 0, 13
	v_and_or_b32 v0, v9, s10, v0
	v_or_b32_e32 v11, 0x1000, v5
	v_add_u32_e32 v8, 0xfffffc10, v8
	v_med3_i32 v9, v12, 0, 13
	v_cmp_ne_u32_e32 vcc, 0, v5
	v_or_b32_e32 v13, 0x1000, v0
	v_lshrrev_b32_e32 v15, v7, v11
	v_add_u32_e32 v10, 0xfffffc10, v10
	v_lshl_or_b32 v12, v8, 12, v5
	v_cndmask_b32_e64 v5, 0, 1, vcc
	v_cmp_ne_u32_e32 vcc, 0, v0
	v_lshrrev_b32_e32 v16, v9, v13
	v_lshlrev_b32_e32 v7, v7, v15
	v_lshl_or_b32 v14, v10, 12, v0
	v_cndmask_b32_e64 v0, 0, 1, vcc
	v_lshlrev_b32_e32 v9, v9, v16
	v_cmp_ne_u32_e32 vcc, v7, v11
	v_cndmask_b32_e64 v7, 0, 1, vcc
	v_cmp_ne_u32_e32 vcc, v9, v13
	v_cndmask_b32_e64 v9, 0, 1, vcc
	v_or_b32_e32 v7, v15, v7
	v_cmp_gt_i32_e32 vcc, 1, v8
	v_cndmask_b32_e32 v7, v12, v7, vcc
	v_or_b32_e32 v9, v16, v9
	v_cmp_gt_i32_e32 vcc, 1, v10
	v_and_b32_e32 v11, 7, v7
	v_cndmask_b32_e32 v9, v14, v9, vcc
	v_cmp_lt_i32_e32 vcc, 5, v11
	v_cmp_eq_u32_e64 s[0:1], 3, v11
	v_lshrrev_b32_e32 v7, 2, v7
	v_and_b32_e32 v12, 7, v9
	s_or_b64 vcc, s[0:1], vcc
	v_cmp_lt_i32_e64 s[2:3], 5, v12
	v_cmp_eq_u32_e64 s[4:5], 3, v12
	v_addc_co_u32_e32 v7, vcc, 0, v7, vcc
	v_lshrrev_b32_e32 v9, 2, v9
	s_or_b64 vcc, s[4:5], s[2:3]
	v_addc_co_u32_e32 v9, vcc, 0, v9, vcc
	v_cmp_gt_i32_e32 vcc, 31, v8
	v_cndmask_b32_e32 v7, v2, v7, vcc
	v_cmp_gt_i32_e32 vcc, 31, v10
	v_lshl_or_b32 v5, v5, 9, v2
	v_cndmask_b32_e32 v9, v2, v9, vcc
	v_cmp_eq_u32_e32 vcc, s18, v8
	v_lshrrev_b32_e32 v6, 16, v6
	v_lshl_or_b32 v0, v0, 9, v2
	v_cndmask_b32_e32 v5, v7, v5, vcc
	v_cmp_eq_u32_e32 vcc, s18, v10
	v_lshrrev_b32_e32 v1, 16, v1
	v_cndmask_b32_e32 v0, v9, v0, vcc
	v_and_or_b32 v5, v6, s17, v5
	v_and_or_b32 v0, v1, s17, v0
	v_and_b32_e32 v1, 0xffff, v5
	v_lshl_or_b32 v0, v0, 16, v1
	global_store_dword v[3:4], v0, off
	global_load_dword v5, v41, s[6:7] offset:432
	ds_read2_b32 v[0:1], v42 offset0:108 offset1:216
	s_mul_i32 s0, s9, 0x1b0
	s_mul_hi_u32 s9, s8, 0x1b0
	s_mulk_i32 s8, 0x1b0
	s_add_i32 s9, s9, s0
	s_waitcnt lgkmcnt(0)
	v_lshrrev_b32_e32 v6, 16, v0
	v_add_co_u32_e32 v3, vcc, s8, v3
	s_waitcnt vmcnt(0)
	v_mul_f16_sdwa v7, v6, v5 dst_sel:DWORD dst_unused:UNUSED_PAD src0_sel:DWORD src1_sel:WORD_1
	v_fma_f16 v7, v0, v5, v7
	v_mul_f16_sdwa v0, v0, v5 dst_sel:DWORD dst_unused:UNUSED_PAD src0_sel:DWORD src1_sel:WORD_1
	v_cvt_f32_f16_e32 v7, v7
	v_fma_f16 v0, v5, v6, -v0
	v_cvt_f32_f16_e32 v0, v0
	v_cvt_f64_f32_e32 v[5:6], v7
	v_cvt_f64_f32_e32 v[7:8], v0
	v_mov_b32_e32 v0, s9
	v_mul_f64 v[5:6], v[5:6], s[14:15]
	v_addc_co_u32_e32 v4, vcc, v4, v0, vcc
	v_mul_f64 v[7:8], v[7:8], s[14:15]
	v_and_or_b32 v0, v6, s16, v5
	v_cmp_ne_u32_e32 vcc, 0, v0
	v_lshrrev_b32_e32 v5, 8, v6
	v_and_or_b32 v7, v8, s16, v7
	v_bfe_u32 v9, v6, 20, 11
	v_cndmask_b32_e64 v0, 0, 1, vcc
	v_cmp_ne_u32_e32 vcc, 0, v7
	v_lshrrev_b32_e32 v10, 8, v8
	v_bfe_u32 v11, v8, 20, 11
	v_sub_u32_e32 v12, 0x3f1, v9
	v_cndmask_b32_e64 v7, 0, 1, vcc
	v_and_or_b32 v0, v5, s10, v0
	v_sub_u32_e32 v13, 0x3f1, v11
	v_med3_i32 v5, v12, 0, 13
	v_and_or_b32 v7, v10, s10, v7
	v_or_b32_e32 v12, 0x1000, v0
	v_add_u32_e32 v9, 0xfffffc10, v9
	v_med3_i32 v10, v13, 0, 13
	v_cmp_ne_u32_e32 vcc, 0, v0
	v_or_b32_e32 v14, 0x1000, v7
	v_lshrrev_b32_e32 v16, v5, v12
	v_add_u32_e32 v11, 0xfffffc10, v11
	v_lshl_or_b32 v13, v9, 12, v0
	v_cndmask_b32_e64 v0, 0, 1, vcc
	v_cmp_ne_u32_e32 vcc, 0, v7
	v_lshrrev_b32_e32 v17, v10, v14
	v_lshlrev_b32_e32 v5, v5, v16
	v_lshl_or_b32 v15, v11, 12, v7
	v_cndmask_b32_e64 v7, 0, 1, vcc
	v_lshlrev_b32_e32 v10, v10, v17
	v_cmp_ne_u32_e32 vcc, v5, v12
	v_cndmask_b32_e64 v5, 0, 1, vcc
	v_cmp_ne_u32_e32 vcc, v10, v14
	v_cndmask_b32_e64 v10, 0, 1, vcc
	v_or_b32_e32 v5, v16, v5
	v_cmp_gt_i32_e32 vcc, 1, v9
	v_cndmask_b32_e32 v5, v13, v5, vcc
	v_or_b32_e32 v10, v17, v10
	v_cmp_gt_i32_e32 vcc, 1, v11
	v_and_b32_e32 v12, 7, v5
	v_cndmask_b32_e32 v10, v15, v10, vcc
	v_cmp_lt_i32_e32 vcc, 5, v12
	v_cmp_eq_u32_e64 s[0:1], 3, v12
	v_lshrrev_b32_e32 v5, 2, v5
	v_and_b32_e32 v13, 7, v10
	s_or_b64 vcc, s[0:1], vcc
	v_cmp_lt_i32_e64 s[2:3], 5, v13
	v_cmp_eq_u32_e64 s[4:5], 3, v13
	v_addc_co_u32_e32 v5, vcc, 0, v5, vcc
	v_lshrrev_b32_e32 v10, 2, v10
	s_or_b64 vcc, s[4:5], s[2:3]
	v_addc_co_u32_e32 v10, vcc, 0, v10, vcc
	v_cmp_gt_i32_e32 vcc, 31, v9
	v_cndmask_b32_e32 v5, v2, v5, vcc
	v_cmp_gt_i32_e32 vcc, 31, v11
	v_lshl_or_b32 v0, v0, 9, v2
	v_cndmask_b32_e32 v10, v2, v10, vcc
	v_cmp_eq_u32_e32 vcc, s18, v9
	v_lshrrev_b32_e32 v6, 16, v6
	v_lshl_or_b32 v7, v7, 9, v2
	v_cndmask_b32_e32 v0, v5, v0, vcc
	v_cmp_eq_u32_e32 vcc, s18, v11
	v_lshrrev_b32_e32 v8, 16, v8
	v_cndmask_b32_e32 v5, v10, v7, vcc
	v_and_or_b32 v0, v6, s17, v0
	v_and_or_b32 v5, v8, s17, v5
	v_and_b32_e32 v0, 0xffff, v0
	v_lshl_or_b32 v0, v5, 16, v0
	global_store_dword v[3:4], v0, off
	global_load_dword v0, v41, s[6:7] offset:864
	v_lshrrev_b32_e32 v5, 16, v1
	v_mov_b32_e32 v7, s9
	v_add_co_u32_e32 v3, vcc, s8, v3
	v_addc_co_u32_e32 v4, vcc, v4, v7, vcc
	s_waitcnt vmcnt(0)
	v_mul_f16_sdwa v6, v5, v0 dst_sel:DWORD dst_unused:UNUSED_PAD src0_sel:DWORD src1_sel:WORD_1
	v_fma_f16 v6, v1, v0, v6
	v_mul_f16_sdwa v1, v1, v0 dst_sel:DWORD dst_unused:UNUSED_PAD src0_sel:DWORD src1_sel:WORD_1
	v_cvt_f32_f16_e32 v6, v6
	v_fma_f16 v0, v0, v5, -v1
	v_cvt_f32_f16_e32 v5, v0
	v_cvt_f64_f32_e32 v[0:1], v6
	v_cvt_f64_f32_e32 v[5:6], v5
	v_mul_f64 v[0:1], v[0:1], s[14:15]
	v_mul_f64 v[5:6], v[5:6], s[14:15]
	v_and_or_b32 v0, v1, s16, v0
	v_cmp_ne_u32_e32 vcc, 0, v0
	v_and_or_b32 v5, v6, s16, v5
	v_lshrrev_b32_e32 v7, 8, v1
	v_bfe_u32 v8, v1, 20, 11
	v_cndmask_b32_e64 v0, 0, 1, vcc
	v_cmp_ne_u32_e32 vcc, 0, v5
	v_lshrrev_b32_e32 v9, 8, v6
	v_bfe_u32 v10, v6, 20, 11
	v_sub_u32_e32 v11, 0x3f1, v8
	v_cndmask_b32_e64 v5, 0, 1, vcc
	v_and_or_b32 v0, v7, s10, v0
	v_sub_u32_e32 v12, 0x3f1, v10
	v_med3_i32 v7, v11, 0, 13
	v_and_or_b32 v5, v9, s10, v5
	v_or_b32_e32 v11, 0x1000, v0
	v_add_u32_e32 v8, 0xfffffc10, v8
	v_med3_i32 v9, v12, 0, 13
	v_cmp_ne_u32_e32 vcc, 0, v0
	v_or_b32_e32 v13, 0x1000, v5
	v_lshrrev_b32_e32 v15, v7, v11
	v_add_u32_e32 v10, 0xfffffc10, v10
	v_lshl_or_b32 v12, v8, 12, v0
	v_cndmask_b32_e64 v0, 0, 1, vcc
	v_cmp_ne_u32_e32 vcc, 0, v5
	v_lshrrev_b32_e32 v16, v9, v13
	v_lshlrev_b32_e32 v7, v7, v15
	v_lshl_or_b32 v14, v10, 12, v5
	v_cndmask_b32_e64 v5, 0, 1, vcc
	v_lshlrev_b32_e32 v9, v9, v16
	v_cmp_ne_u32_e32 vcc, v7, v11
	v_cndmask_b32_e64 v7, 0, 1, vcc
	v_cmp_ne_u32_e32 vcc, v9, v13
	v_cndmask_b32_e64 v9, 0, 1, vcc
	v_or_b32_e32 v7, v15, v7
	v_cmp_gt_i32_e32 vcc, 1, v8
	v_cndmask_b32_e32 v7, v12, v7, vcc
	v_or_b32_e32 v9, v16, v9
	v_cmp_gt_i32_e32 vcc, 1, v10
	v_and_b32_e32 v11, 7, v7
	v_cndmask_b32_e32 v9, v14, v9, vcc
	v_cmp_lt_i32_e32 vcc, 5, v11
	v_cmp_eq_u32_e64 s[0:1], 3, v11
	v_lshrrev_b32_e32 v7, 2, v7
	v_and_b32_e32 v12, 7, v9
	s_or_b64 vcc, s[0:1], vcc
	v_cmp_lt_i32_e64 s[2:3], 5, v12
	v_cmp_eq_u32_e64 s[4:5], 3, v12
	v_addc_co_u32_e32 v7, vcc, 0, v7, vcc
	v_lshrrev_b32_e32 v9, 2, v9
	s_or_b64 vcc, s[4:5], s[2:3]
	v_addc_co_u32_e32 v9, vcc, 0, v9, vcc
	v_cmp_gt_i32_e32 vcc, 31, v8
	v_cndmask_b32_e32 v7, v2, v7, vcc
	v_cmp_gt_i32_e32 vcc, 31, v10
	v_lshl_or_b32 v0, v0, 9, v2
	v_cndmask_b32_e32 v9, v2, v9, vcc
	v_cmp_eq_u32_e32 vcc, s18, v8
	v_lshrrev_b32_e32 v1, 16, v1
	v_lshl_or_b32 v5, v5, 9, v2
	v_cndmask_b32_e32 v0, v7, v0, vcc
	v_cmp_eq_u32_e32 vcc, s18, v10
	v_lshrrev_b32_e32 v6, 16, v6
	v_cndmask_b32_e32 v5, v9, v5, vcc
	v_and_or_b32 v0, v1, s17, v0
	v_and_or_b32 v1, v6, s17, v5
	v_and_b32_e32 v0, 0xffff, v0
	v_lshl_or_b32 v0, v1, 16, v0
	global_store_dword v[3:4], v0, off
	global_load_dword v5, v41, s[6:7] offset:1296
	v_add_u32_e32 v0, 0x400, v42
	ds_read2_b32 v[0:1], v0 offset0:68 offset1:176
	v_add_co_u32_e32 v3, vcc, s8, v3
	s_waitcnt lgkmcnt(0)
	v_lshrrev_b32_e32 v6, 16, v0
	s_waitcnt vmcnt(0)
	v_mul_f16_sdwa v7, v6, v5 dst_sel:DWORD dst_unused:UNUSED_PAD src0_sel:DWORD src1_sel:WORD_1
	v_fma_f16 v7, v0, v5, v7
	v_mul_f16_sdwa v0, v0, v5 dst_sel:DWORD dst_unused:UNUSED_PAD src0_sel:DWORD src1_sel:WORD_1
	v_cvt_f32_f16_e32 v7, v7
	v_fma_f16 v0, v5, v6, -v0
	v_cvt_f32_f16_e32 v0, v0
	v_cvt_f64_f32_e32 v[5:6], v7
	v_cvt_f64_f32_e32 v[7:8], v0
	v_mov_b32_e32 v0, s9
	v_mul_f64 v[5:6], v[5:6], s[14:15]
	v_addc_co_u32_e32 v4, vcc, v4, v0, vcc
	v_mul_f64 v[7:8], v[7:8], s[14:15]
	v_and_or_b32 v0, v6, s16, v5
	v_cmp_ne_u32_e32 vcc, 0, v0
	v_lshrrev_b32_e32 v5, 8, v6
	v_and_or_b32 v7, v8, s16, v7
	v_bfe_u32 v9, v6, 20, 11
	v_cndmask_b32_e64 v0, 0, 1, vcc
	v_cmp_ne_u32_e32 vcc, 0, v7
	v_lshrrev_b32_e32 v10, 8, v8
	v_bfe_u32 v11, v8, 20, 11
	v_sub_u32_e32 v12, 0x3f1, v9
	v_cndmask_b32_e64 v7, 0, 1, vcc
	v_and_or_b32 v0, v5, s10, v0
	v_sub_u32_e32 v13, 0x3f1, v11
	v_med3_i32 v5, v12, 0, 13
	v_and_or_b32 v7, v10, s10, v7
	v_or_b32_e32 v12, 0x1000, v0
	v_add_u32_e32 v9, 0xfffffc10, v9
	v_med3_i32 v10, v13, 0, 13
	v_cmp_ne_u32_e32 vcc, 0, v0
	v_or_b32_e32 v14, 0x1000, v7
	v_lshrrev_b32_e32 v16, v5, v12
	v_add_u32_e32 v11, 0xfffffc10, v11
	v_lshl_or_b32 v13, v9, 12, v0
	v_cndmask_b32_e64 v0, 0, 1, vcc
	v_cmp_ne_u32_e32 vcc, 0, v7
	v_lshrrev_b32_e32 v17, v10, v14
	v_lshlrev_b32_e32 v5, v5, v16
	v_lshl_or_b32 v15, v11, 12, v7
	v_cndmask_b32_e64 v7, 0, 1, vcc
	v_lshlrev_b32_e32 v10, v10, v17
	v_cmp_ne_u32_e32 vcc, v5, v12
	v_cndmask_b32_e64 v5, 0, 1, vcc
	v_cmp_ne_u32_e32 vcc, v10, v14
	v_cndmask_b32_e64 v10, 0, 1, vcc
	v_or_b32_e32 v5, v16, v5
	v_cmp_gt_i32_e32 vcc, 1, v9
	v_cndmask_b32_e32 v5, v13, v5, vcc
	v_or_b32_e32 v10, v17, v10
	v_cmp_gt_i32_e32 vcc, 1, v11
	v_and_b32_e32 v12, 7, v5
	v_cndmask_b32_e32 v10, v15, v10, vcc
	v_cmp_lt_i32_e32 vcc, 5, v12
	v_cmp_eq_u32_e64 s[0:1], 3, v12
	v_lshrrev_b32_e32 v5, 2, v5
	v_and_b32_e32 v13, 7, v10
	s_or_b64 vcc, s[0:1], vcc
	v_cmp_lt_i32_e64 s[2:3], 5, v13
	v_cmp_eq_u32_e64 s[4:5], 3, v13
	v_addc_co_u32_e32 v5, vcc, 0, v5, vcc
	v_lshrrev_b32_e32 v10, 2, v10
	s_or_b64 vcc, s[4:5], s[2:3]
	v_addc_co_u32_e32 v10, vcc, 0, v10, vcc
	v_cmp_gt_i32_e32 vcc, 31, v9
	v_cndmask_b32_e32 v5, v2, v5, vcc
	v_cmp_gt_i32_e32 vcc, 31, v11
	v_lshl_or_b32 v0, v0, 9, v2
	v_cndmask_b32_e32 v10, v2, v10, vcc
	v_cmp_eq_u32_e32 vcc, s18, v9
	v_lshrrev_b32_e32 v6, 16, v6
	v_lshl_or_b32 v7, v7, 9, v2
	v_cndmask_b32_e32 v0, v5, v0, vcc
	v_cmp_eq_u32_e32 vcc, s18, v11
	v_lshrrev_b32_e32 v8, 16, v8
	v_cndmask_b32_e32 v5, v10, v7, vcc
	v_and_or_b32 v0, v6, s17, v0
	v_and_or_b32 v5, v8, s17, v5
	v_and_b32_e32 v0, 0xffff, v0
	v_lshl_or_b32 v0, v5, 16, v0
	global_store_dword v[3:4], v0, off
	global_load_dword v0, v41, s[6:7] offset:1728
	v_lshrrev_b32_e32 v5, 16, v1
	v_mov_b32_e32 v7, s9
	v_add_co_u32_e32 v3, vcc, s8, v3
	v_addc_co_u32_e32 v4, vcc, v4, v7, vcc
	s_waitcnt vmcnt(0)
	v_mul_f16_sdwa v6, v5, v0 dst_sel:DWORD dst_unused:UNUSED_PAD src0_sel:DWORD src1_sel:WORD_1
	v_fma_f16 v6, v1, v0, v6
	v_mul_f16_sdwa v1, v1, v0 dst_sel:DWORD dst_unused:UNUSED_PAD src0_sel:DWORD src1_sel:WORD_1
	v_cvt_f32_f16_e32 v6, v6
	v_fma_f16 v0, v0, v5, -v1
	v_cvt_f32_f16_e32 v5, v0
	v_cvt_f64_f32_e32 v[0:1], v6
	v_cvt_f64_f32_e32 v[5:6], v5
	v_mul_f64 v[0:1], v[0:1], s[14:15]
	v_mul_f64 v[5:6], v[5:6], s[14:15]
	v_and_or_b32 v0, v1, s16, v0
	v_cmp_ne_u32_e32 vcc, 0, v0
	v_and_or_b32 v5, v6, s16, v5
	v_lshrrev_b32_e32 v7, 8, v1
	v_bfe_u32 v8, v1, 20, 11
	v_cndmask_b32_e64 v0, 0, 1, vcc
	v_cmp_ne_u32_e32 vcc, 0, v5
	v_lshrrev_b32_e32 v9, 8, v6
	v_bfe_u32 v10, v6, 20, 11
	v_sub_u32_e32 v11, 0x3f1, v8
	v_cndmask_b32_e64 v5, 0, 1, vcc
	v_and_or_b32 v0, v7, s10, v0
	v_sub_u32_e32 v12, 0x3f1, v10
	v_med3_i32 v7, v11, 0, 13
	v_and_or_b32 v5, v9, s10, v5
	v_or_b32_e32 v11, 0x1000, v0
	v_add_u32_e32 v8, 0xfffffc10, v8
	v_med3_i32 v9, v12, 0, 13
	v_cmp_ne_u32_e32 vcc, 0, v0
	v_or_b32_e32 v13, 0x1000, v5
	v_lshrrev_b32_e32 v15, v7, v11
	v_add_u32_e32 v10, 0xfffffc10, v10
	v_lshl_or_b32 v12, v8, 12, v0
	v_cndmask_b32_e64 v0, 0, 1, vcc
	v_cmp_ne_u32_e32 vcc, 0, v5
	v_lshrrev_b32_e32 v16, v9, v13
	v_lshlrev_b32_e32 v7, v7, v15
	v_lshl_or_b32 v14, v10, 12, v5
	v_cndmask_b32_e64 v5, 0, 1, vcc
	v_lshlrev_b32_e32 v9, v9, v16
	v_cmp_ne_u32_e32 vcc, v7, v11
	v_cndmask_b32_e64 v7, 0, 1, vcc
	v_cmp_ne_u32_e32 vcc, v9, v13
	v_cndmask_b32_e64 v9, 0, 1, vcc
	v_or_b32_e32 v7, v15, v7
	v_cmp_gt_i32_e32 vcc, 1, v8
	v_cndmask_b32_e32 v7, v12, v7, vcc
	v_or_b32_e32 v9, v16, v9
	v_cmp_gt_i32_e32 vcc, 1, v10
	v_and_b32_e32 v11, 7, v7
	v_cndmask_b32_e32 v9, v14, v9, vcc
	v_cmp_lt_i32_e32 vcc, 5, v11
	v_cmp_eq_u32_e64 s[0:1], 3, v11
	v_lshrrev_b32_e32 v7, 2, v7
	v_and_b32_e32 v12, 7, v9
	s_or_b64 vcc, s[0:1], vcc
	v_cmp_lt_i32_e64 s[2:3], 5, v12
	v_cmp_eq_u32_e64 s[4:5], 3, v12
	v_addc_co_u32_e32 v7, vcc, 0, v7, vcc
	v_lshrrev_b32_e32 v9, 2, v9
	s_or_b64 vcc, s[4:5], s[2:3]
	v_addc_co_u32_e32 v9, vcc, 0, v9, vcc
	v_cmp_gt_i32_e32 vcc, 31, v8
	v_cndmask_b32_e32 v7, v2, v7, vcc
	v_cmp_gt_i32_e32 vcc, 31, v10
	v_lshl_or_b32 v0, v0, 9, v2
	v_cndmask_b32_e32 v9, v2, v9, vcc
	v_cmp_eq_u32_e32 vcc, s18, v8
	v_lshrrev_b32_e32 v1, 16, v1
	v_lshl_or_b32 v5, v5, 9, v2
	v_cndmask_b32_e32 v0, v7, v0, vcc
	v_cmp_eq_u32_e32 vcc, s18, v10
	v_lshrrev_b32_e32 v6, 16, v6
	v_cndmask_b32_e32 v5, v9, v5, vcc
	v_and_or_b32 v0, v1, s17, v0
	v_and_or_b32 v1, v6, s17, v5
	v_and_b32_e32 v0, 0xffff, v0
	v_lshl_or_b32 v0, v1, 16, v0
	global_store_dword v[3:4], v0, off
	global_load_dword v5, v41, s[6:7] offset:2160
	v_add_u32_e32 v0, 0x800, v42
	ds_read2_b32 v[0:1], v0 offset0:28 offset1:136
	v_add_co_u32_e32 v3, vcc, s8, v3
	s_waitcnt lgkmcnt(0)
	v_lshrrev_b32_e32 v6, 16, v0
	s_waitcnt vmcnt(0)
	v_mul_f16_sdwa v7, v6, v5 dst_sel:DWORD dst_unused:UNUSED_PAD src0_sel:DWORD src1_sel:WORD_1
	v_fma_f16 v7, v0, v5, v7
	v_mul_f16_sdwa v0, v0, v5 dst_sel:DWORD dst_unused:UNUSED_PAD src0_sel:DWORD src1_sel:WORD_1
	v_cvt_f32_f16_e32 v7, v7
	v_fma_f16 v0, v5, v6, -v0
	v_cvt_f32_f16_e32 v0, v0
	v_cvt_f64_f32_e32 v[5:6], v7
	v_cvt_f64_f32_e32 v[7:8], v0
	v_mov_b32_e32 v0, s9
	v_mul_f64 v[5:6], v[5:6], s[14:15]
	v_addc_co_u32_e32 v4, vcc, v4, v0, vcc
	v_mul_f64 v[7:8], v[7:8], s[14:15]
	v_and_or_b32 v0, v6, s16, v5
	v_cmp_ne_u32_e32 vcc, 0, v0
	v_lshrrev_b32_e32 v5, 8, v6
	v_and_or_b32 v7, v8, s16, v7
	v_bfe_u32 v9, v6, 20, 11
	v_cndmask_b32_e64 v0, 0, 1, vcc
	v_cmp_ne_u32_e32 vcc, 0, v7
	v_lshrrev_b32_e32 v10, 8, v8
	v_bfe_u32 v11, v8, 20, 11
	v_sub_u32_e32 v12, 0x3f1, v9
	v_cndmask_b32_e64 v7, 0, 1, vcc
	v_and_or_b32 v0, v5, s10, v0
	v_sub_u32_e32 v13, 0x3f1, v11
	v_med3_i32 v5, v12, 0, 13
	v_and_or_b32 v7, v10, s10, v7
	v_or_b32_e32 v12, 0x1000, v0
	v_add_u32_e32 v9, 0xfffffc10, v9
	v_med3_i32 v10, v13, 0, 13
	v_cmp_ne_u32_e32 vcc, 0, v0
	v_or_b32_e32 v14, 0x1000, v7
	v_lshrrev_b32_e32 v16, v5, v12
	v_add_u32_e32 v11, 0xfffffc10, v11
	v_lshl_or_b32 v13, v9, 12, v0
	v_cndmask_b32_e64 v0, 0, 1, vcc
	v_cmp_ne_u32_e32 vcc, 0, v7
	v_lshrrev_b32_e32 v17, v10, v14
	v_lshlrev_b32_e32 v5, v5, v16
	v_lshl_or_b32 v15, v11, 12, v7
	v_cndmask_b32_e64 v7, 0, 1, vcc
	v_lshlrev_b32_e32 v10, v10, v17
	v_cmp_ne_u32_e32 vcc, v5, v12
	v_cndmask_b32_e64 v5, 0, 1, vcc
	v_cmp_ne_u32_e32 vcc, v10, v14
	v_cndmask_b32_e64 v10, 0, 1, vcc
	v_or_b32_e32 v5, v16, v5
	v_cmp_gt_i32_e32 vcc, 1, v9
	v_cndmask_b32_e32 v5, v13, v5, vcc
	v_or_b32_e32 v10, v17, v10
	v_cmp_gt_i32_e32 vcc, 1, v11
	v_and_b32_e32 v12, 7, v5
	v_cndmask_b32_e32 v10, v15, v10, vcc
	v_cmp_lt_i32_e32 vcc, 5, v12
	v_cmp_eq_u32_e64 s[0:1], 3, v12
	v_lshrrev_b32_e32 v5, 2, v5
	v_and_b32_e32 v13, 7, v10
	s_or_b64 vcc, s[0:1], vcc
	v_cmp_lt_i32_e64 s[2:3], 5, v13
	v_cmp_eq_u32_e64 s[4:5], 3, v13
	v_addc_co_u32_e32 v5, vcc, 0, v5, vcc
	v_lshrrev_b32_e32 v10, 2, v10
	s_or_b64 vcc, s[4:5], s[2:3]
	v_addc_co_u32_e32 v10, vcc, 0, v10, vcc
	v_cmp_gt_i32_e32 vcc, 31, v9
	v_cndmask_b32_e32 v5, v2, v5, vcc
	v_cmp_gt_i32_e32 vcc, 31, v11
	v_lshl_or_b32 v0, v0, 9, v2
	v_cndmask_b32_e32 v10, v2, v10, vcc
	v_cmp_eq_u32_e32 vcc, s18, v9
	v_lshrrev_b32_e32 v6, 16, v6
	v_lshl_or_b32 v7, v7, 9, v2
	v_cndmask_b32_e32 v0, v5, v0, vcc
	v_cmp_eq_u32_e32 vcc, s18, v11
	v_lshrrev_b32_e32 v8, 16, v8
	v_cndmask_b32_e32 v5, v10, v7, vcc
	v_and_or_b32 v0, v6, s17, v0
	v_and_or_b32 v5, v8, s17, v5
	v_and_b32_e32 v0, 0xffff, v0
	v_lshl_or_b32 v0, v5, 16, v0
	global_store_dword v[3:4], v0, off
	global_load_dword v0, v41, s[6:7] offset:2592
	v_lshrrev_b32_e32 v5, 16, v1
	v_mov_b32_e32 v7, s9
	v_add_co_u32_e32 v3, vcc, s8, v3
	v_addc_co_u32_e32 v4, vcc, v4, v7, vcc
	s_waitcnt vmcnt(0)
	v_mul_f16_sdwa v6, v5, v0 dst_sel:DWORD dst_unused:UNUSED_PAD src0_sel:DWORD src1_sel:WORD_1
	v_fma_f16 v6, v1, v0, v6
	v_mul_f16_sdwa v1, v1, v0 dst_sel:DWORD dst_unused:UNUSED_PAD src0_sel:DWORD src1_sel:WORD_1
	v_cvt_f32_f16_e32 v6, v6
	v_fma_f16 v0, v0, v5, -v1
	v_cvt_f32_f16_e32 v5, v0
	v_cvt_f64_f32_e32 v[0:1], v6
	v_cvt_f64_f32_e32 v[5:6], v5
	v_mul_f64 v[0:1], v[0:1], s[14:15]
	v_mul_f64 v[5:6], v[5:6], s[14:15]
	v_and_or_b32 v0, v1, s16, v0
	v_cmp_ne_u32_e32 vcc, 0, v0
	v_and_or_b32 v5, v6, s16, v5
	v_lshrrev_b32_e32 v7, 8, v1
	v_bfe_u32 v8, v1, 20, 11
	v_cndmask_b32_e64 v0, 0, 1, vcc
	v_cmp_ne_u32_e32 vcc, 0, v5
	v_lshrrev_b32_e32 v9, 8, v6
	v_bfe_u32 v10, v6, 20, 11
	v_sub_u32_e32 v11, 0x3f1, v8
	v_cndmask_b32_e64 v5, 0, 1, vcc
	v_and_or_b32 v0, v7, s10, v0
	v_sub_u32_e32 v12, 0x3f1, v10
	v_med3_i32 v7, v11, 0, 13
	v_and_or_b32 v5, v9, s10, v5
	v_or_b32_e32 v11, 0x1000, v0
	v_add_u32_e32 v8, 0xfffffc10, v8
	v_med3_i32 v9, v12, 0, 13
	v_cmp_ne_u32_e32 vcc, 0, v0
	v_or_b32_e32 v13, 0x1000, v5
	v_lshrrev_b32_e32 v15, v7, v11
	v_add_u32_e32 v10, 0xfffffc10, v10
	v_lshl_or_b32 v12, v8, 12, v0
	v_cndmask_b32_e64 v0, 0, 1, vcc
	v_cmp_ne_u32_e32 vcc, 0, v5
	v_lshrrev_b32_e32 v16, v9, v13
	v_lshlrev_b32_e32 v7, v7, v15
	v_lshl_or_b32 v14, v10, 12, v5
	v_cndmask_b32_e64 v5, 0, 1, vcc
	v_lshlrev_b32_e32 v9, v9, v16
	v_cmp_ne_u32_e32 vcc, v7, v11
	v_cndmask_b32_e64 v7, 0, 1, vcc
	v_cmp_ne_u32_e32 vcc, v9, v13
	v_cndmask_b32_e64 v9, 0, 1, vcc
	v_or_b32_e32 v7, v15, v7
	v_cmp_gt_i32_e32 vcc, 1, v8
	v_cndmask_b32_e32 v7, v12, v7, vcc
	v_or_b32_e32 v9, v16, v9
	v_cmp_gt_i32_e32 vcc, 1, v10
	v_and_b32_e32 v11, 7, v7
	v_cndmask_b32_e32 v9, v14, v9, vcc
	v_cmp_lt_i32_e32 vcc, 5, v11
	v_cmp_eq_u32_e64 s[0:1], 3, v11
	v_lshrrev_b32_e32 v7, 2, v7
	v_and_b32_e32 v12, 7, v9
	s_or_b64 vcc, s[0:1], vcc
	v_cmp_lt_i32_e64 s[2:3], 5, v12
	v_cmp_eq_u32_e64 s[4:5], 3, v12
	v_addc_co_u32_e32 v7, vcc, 0, v7, vcc
	v_lshrrev_b32_e32 v9, 2, v9
	s_or_b64 vcc, s[4:5], s[2:3]
	v_addc_co_u32_e32 v9, vcc, 0, v9, vcc
	v_cmp_gt_i32_e32 vcc, 31, v8
	v_cndmask_b32_e32 v7, v2, v7, vcc
	v_cmp_gt_i32_e32 vcc, 31, v10
	v_lshl_or_b32 v0, v0, 9, v2
	v_cndmask_b32_e32 v9, v2, v9, vcc
	v_cmp_eq_u32_e32 vcc, s18, v8
	v_lshrrev_b32_e32 v1, 16, v1
	v_lshl_or_b32 v5, v5, 9, v2
	v_cndmask_b32_e32 v0, v7, v0, vcc
	v_cmp_eq_u32_e32 vcc, s18, v10
	v_lshrrev_b32_e32 v6, 16, v6
	v_cndmask_b32_e32 v5, v9, v5, vcc
	v_and_or_b32 v0, v1, s17, v0
	v_and_or_b32 v1, v6, s17, v5
	v_and_b32_e32 v0, 0xffff, v0
	v_lshl_or_b32 v0, v1, 16, v0
	global_store_dword v[3:4], v0, off
	global_load_dword v5, v41, s[6:7] offset:3024
	v_add_u32_e32 v0, 0xa00, v42
	ds_read2_b32 v[0:1], v0 offset0:116 offset1:224
	v_add_co_u32_e32 v3, vcc, s8, v3
	s_waitcnt lgkmcnt(0)
	v_lshrrev_b32_e32 v6, 16, v0
	s_waitcnt vmcnt(0)
	v_mul_f16_sdwa v7, v6, v5 dst_sel:DWORD dst_unused:UNUSED_PAD src0_sel:DWORD src1_sel:WORD_1
	v_fma_f16 v7, v0, v5, v7
	v_mul_f16_sdwa v0, v0, v5 dst_sel:DWORD dst_unused:UNUSED_PAD src0_sel:DWORD src1_sel:WORD_1
	v_cvt_f32_f16_e32 v7, v7
	v_fma_f16 v0, v5, v6, -v0
	v_cvt_f32_f16_e32 v0, v0
	v_cvt_f64_f32_e32 v[5:6], v7
	v_cvt_f64_f32_e32 v[7:8], v0
	v_mov_b32_e32 v0, s9
	v_mul_f64 v[5:6], v[5:6], s[14:15]
	v_addc_co_u32_e32 v4, vcc, v4, v0, vcc
	v_mul_f64 v[7:8], v[7:8], s[14:15]
	v_and_or_b32 v0, v6, s16, v5
	v_cmp_ne_u32_e32 vcc, 0, v0
	v_lshrrev_b32_e32 v5, 8, v6
	v_and_or_b32 v7, v8, s16, v7
	v_bfe_u32 v9, v6, 20, 11
	v_cndmask_b32_e64 v0, 0, 1, vcc
	v_cmp_ne_u32_e32 vcc, 0, v7
	v_lshrrev_b32_e32 v10, 8, v8
	v_bfe_u32 v11, v8, 20, 11
	v_sub_u32_e32 v12, 0x3f1, v9
	v_cndmask_b32_e64 v7, 0, 1, vcc
	v_and_or_b32 v0, v5, s10, v0
	v_sub_u32_e32 v13, 0x3f1, v11
	v_med3_i32 v5, v12, 0, 13
	v_and_or_b32 v7, v10, s10, v7
	v_or_b32_e32 v12, 0x1000, v0
	v_add_u32_e32 v9, 0xfffffc10, v9
	v_med3_i32 v10, v13, 0, 13
	v_cmp_ne_u32_e32 vcc, 0, v0
	v_or_b32_e32 v14, 0x1000, v7
	v_lshrrev_b32_e32 v16, v5, v12
	v_add_u32_e32 v11, 0xfffffc10, v11
	v_lshl_or_b32 v13, v9, 12, v0
	v_cndmask_b32_e64 v0, 0, 1, vcc
	v_cmp_ne_u32_e32 vcc, 0, v7
	v_lshrrev_b32_e32 v17, v10, v14
	v_lshlrev_b32_e32 v5, v5, v16
	v_lshl_or_b32 v15, v11, 12, v7
	v_cndmask_b32_e64 v7, 0, 1, vcc
	v_lshlrev_b32_e32 v10, v10, v17
	v_cmp_ne_u32_e32 vcc, v5, v12
	v_cndmask_b32_e64 v5, 0, 1, vcc
	v_cmp_ne_u32_e32 vcc, v10, v14
	v_cndmask_b32_e64 v10, 0, 1, vcc
	v_or_b32_e32 v5, v16, v5
	v_cmp_gt_i32_e32 vcc, 1, v9
	v_cndmask_b32_e32 v5, v13, v5, vcc
	v_or_b32_e32 v10, v17, v10
	v_cmp_gt_i32_e32 vcc, 1, v11
	v_and_b32_e32 v12, 7, v5
	v_cndmask_b32_e32 v10, v15, v10, vcc
	v_cmp_lt_i32_e32 vcc, 5, v12
	v_cmp_eq_u32_e64 s[0:1], 3, v12
	v_lshrrev_b32_e32 v5, 2, v5
	v_and_b32_e32 v13, 7, v10
	s_or_b64 vcc, s[0:1], vcc
	v_cmp_lt_i32_e64 s[2:3], 5, v13
	v_cmp_eq_u32_e64 s[4:5], 3, v13
	v_addc_co_u32_e32 v5, vcc, 0, v5, vcc
	v_lshrrev_b32_e32 v10, 2, v10
	s_or_b64 vcc, s[4:5], s[2:3]
	v_addc_co_u32_e32 v10, vcc, 0, v10, vcc
	v_cmp_gt_i32_e32 vcc, 31, v9
	v_cndmask_b32_e32 v5, v2, v5, vcc
	v_cmp_gt_i32_e32 vcc, 31, v11
	v_lshl_or_b32 v0, v0, 9, v2
	v_cndmask_b32_e32 v10, v2, v10, vcc
	v_cmp_eq_u32_e32 vcc, s18, v9
	v_lshrrev_b32_e32 v6, 16, v6
	v_lshl_or_b32 v7, v7, 9, v2
	v_cndmask_b32_e32 v0, v5, v0, vcc
	v_cmp_eq_u32_e32 vcc, s18, v11
	v_lshrrev_b32_e32 v8, 16, v8
	v_cndmask_b32_e32 v5, v10, v7, vcc
	v_and_or_b32 v0, v6, s17, v0
	v_and_or_b32 v5, v8, s17, v5
	v_and_b32_e32 v0, 0xffff, v0
	v_lshl_or_b32 v0, v5, 16, v0
	global_store_dword v[3:4], v0, off
	global_load_dword v0, v41, s[6:7] offset:3456
	v_lshrrev_b32_e32 v5, 16, v1
	v_mov_b32_e32 v7, s9
	v_add_co_u32_e32 v3, vcc, s8, v3
	v_addc_co_u32_e32 v4, vcc, v4, v7, vcc
	s_waitcnt vmcnt(0)
	v_mul_f16_sdwa v6, v5, v0 dst_sel:DWORD dst_unused:UNUSED_PAD src0_sel:DWORD src1_sel:WORD_1
	v_fma_f16 v6, v1, v0, v6
	v_mul_f16_sdwa v1, v1, v0 dst_sel:DWORD dst_unused:UNUSED_PAD src0_sel:DWORD src1_sel:WORD_1
	v_cvt_f32_f16_e32 v6, v6
	v_fma_f16 v0, v0, v5, -v1
	v_cvt_f32_f16_e32 v5, v0
	v_cvt_f64_f32_e32 v[0:1], v6
	v_cvt_f64_f32_e32 v[5:6], v5
	v_mul_f64 v[0:1], v[0:1], s[14:15]
	v_mul_f64 v[5:6], v[5:6], s[14:15]
	v_and_or_b32 v0, v1, s16, v0
	v_cmp_ne_u32_e32 vcc, 0, v0
	v_and_or_b32 v5, v6, s16, v5
	v_lshrrev_b32_e32 v7, 8, v1
	v_bfe_u32 v8, v1, 20, 11
	v_cndmask_b32_e64 v0, 0, 1, vcc
	v_cmp_ne_u32_e32 vcc, 0, v5
	v_lshrrev_b32_e32 v9, 8, v6
	v_bfe_u32 v10, v6, 20, 11
	v_sub_u32_e32 v11, 0x3f1, v8
	v_cndmask_b32_e64 v5, 0, 1, vcc
	v_and_or_b32 v0, v7, s10, v0
	v_sub_u32_e32 v12, 0x3f1, v10
	v_med3_i32 v7, v11, 0, 13
	v_and_or_b32 v5, v9, s10, v5
	v_or_b32_e32 v11, 0x1000, v0
	v_add_u32_e32 v8, 0xfffffc10, v8
	v_med3_i32 v9, v12, 0, 13
	v_cmp_ne_u32_e32 vcc, 0, v0
	v_or_b32_e32 v13, 0x1000, v5
	v_lshrrev_b32_e32 v15, v7, v11
	v_add_u32_e32 v10, 0xfffffc10, v10
	v_lshl_or_b32 v12, v8, 12, v0
	v_cndmask_b32_e64 v0, 0, 1, vcc
	v_cmp_ne_u32_e32 vcc, 0, v5
	v_lshrrev_b32_e32 v16, v9, v13
	v_lshlrev_b32_e32 v7, v7, v15
	v_lshl_or_b32 v14, v10, 12, v5
	v_cndmask_b32_e64 v5, 0, 1, vcc
	v_lshlrev_b32_e32 v9, v9, v16
	v_cmp_ne_u32_e32 vcc, v7, v11
	v_cndmask_b32_e64 v7, 0, 1, vcc
	v_cmp_ne_u32_e32 vcc, v9, v13
	v_cndmask_b32_e64 v9, 0, 1, vcc
	v_or_b32_e32 v7, v15, v7
	v_cmp_gt_i32_e32 vcc, 1, v8
	v_cndmask_b32_e32 v7, v12, v7, vcc
	v_or_b32_e32 v9, v16, v9
	v_cmp_gt_i32_e32 vcc, 1, v10
	v_and_b32_e32 v11, 7, v7
	v_cndmask_b32_e32 v9, v14, v9, vcc
	v_cmp_lt_i32_e32 vcc, 5, v11
	v_cmp_eq_u32_e64 s[0:1], 3, v11
	v_lshrrev_b32_e32 v7, 2, v7
	v_and_b32_e32 v12, 7, v9
	s_or_b64 vcc, s[0:1], vcc
	v_cmp_lt_i32_e64 s[2:3], 5, v12
	v_cmp_eq_u32_e64 s[4:5], 3, v12
	v_addc_co_u32_e32 v7, vcc, 0, v7, vcc
	v_lshrrev_b32_e32 v9, 2, v9
	s_or_b64 vcc, s[4:5], s[2:3]
	v_addc_co_u32_e32 v9, vcc, 0, v9, vcc
	v_cmp_gt_i32_e32 vcc, 31, v8
	v_cndmask_b32_e32 v7, v2, v7, vcc
	v_cmp_gt_i32_e32 vcc, 31, v10
	v_lshl_or_b32 v0, v0, 9, v2
	v_cndmask_b32_e32 v9, v2, v9, vcc
	v_cmp_eq_u32_e32 vcc, s18, v8
	v_lshrrev_b32_e32 v1, 16, v1
	v_lshl_or_b32 v5, v5, 9, v2
	v_cndmask_b32_e32 v0, v7, v0, vcc
	v_cmp_eq_u32_e32 vcc, s18, v10
	v_lshrrev_b32_e32 v6, 16, v6
	v_cndmask_b32_e32 v5, v9, v5, vcc
	v_and_or_b32 v0, v1, s17, v0
	v_and_or_b32 v1, v6, s17, v5
	v_and_b32_e32 v0, 0xffff, v0
	v_lshl_or_b32 v0, v1, 16, v0
	global_store_dword v[3:4], v0, off
	global_load_dword v0, v41, s[6:7] offset:3888
	v_add_u32_e32 v1, 0xe00, v42
	ds_read2_b32 v[5:6], v1 offset0:76 offset1:184
	v_mov_b32_e32 v7, s7
	v_add_co_u32_e32 v11, vcc, s6, v41
	v_addc_co_u32_e32 v12, vcc, 0, v7, vcc
	s_waitcnt lgkmcnt(0)
	v_lshrrev_b32_e32 v1, 16, v5
	s_movk_i32 s0, 0x1000
	v_mov_b32_e32 v13, s9
	s_waitcnt vmcnt(0)
	v_mul_f16_sdwa v8, v1, v0 dst_sel:DWORD dst_unused:UNUSED_PAD src0_sel:DWORD src1_sel:WORD_1
	v_fma_f16 v8, v5, v0, v8
	v_mul_f16_sdwa v5, v5, v0 dst_sel:DWORD dst_unused:UNUSED_PAD src0_sel:DWORD src1_sel:WORD_1
	v_cvt_f32_f16_e32 v8, v8
	v_fma_f16 v0, v0, v1, -v5
	v_cvt_f32_f16_e32 v5, v0
	v_cvt_f64_f32_e32 v[0:1], v8
	v_cvt_f64_f32_e32 v[7:8], v5
	v_mul_f64 v[9:10], v[0:1], s[14:15]
	v_add_co_u32_e32 v0, vcc, s0, v11
	v_mul_f64 v[7:8], v[7:8], s[14:15]
	v_addc_co_u32_e32 v1, vcc, 0, v12, vcc
	v_add_co_u32_e32 v3, vcc, s8, v3
	v_addc_co_u32_e32 v4, vcc, v4, v13, vcc
	v_and_or_b32 v5, v10, s16, v9
	v_and_or_b32 v7, v8, s16, v7
	v_cmp_ne_u32_e32 vcc, 0, v5
	v_lshrrev_b32_e32 v9, 8, v10
	v_bfe_u32 v11, v10, 20, 11
	v_cndmask_b32_e64 v5, 0, 1, vcc
	v_cmp_ne_u32_e32 vcc, 0, v7
	v_lshrrev_b32_e32 v12, 8, v8
	v_bfe_u32 v13, v8, 20, 11
	v_sub_u32_e32 v14, 0x3f1, v11
	v_cndmask_b32_e64 v7, 0, 1, vcc
	v_and_or_b32 v5, v9, s10, v5
	v_sub_u32_e32 v15, 0x3f1, v13
	v_med3_i32 v9, v14, 0, 13
	v_and_or_b32 v7, v12, s10, v7
	v_or_b32_e32 v14, 0x1000, v5
	v_add_u32_e32 v11, 0xfffffc10, v11
	v_med3_i32 v12, v15, 0, 13
	v_cmp_ne_u32_e32 vcc, 0, v5
	v_or_b32_e32 v16, 0x1000, v7
	v_lshrrev_b32_e32 v18, v9, v14
	v_add_u32_e32 v13, 0xfffffc10, v13
	v_lshl_or_b32 v15, v11, 12, v5
	v_cndmask_b32_e64 v5, 0, 1, vcc
	v_cmp_ne_u32_e32 vcc, 0, v7
	v_lshrrev_b32_e32 v19, v12, v16
	v_lshlrev_b32_e32 v9, v9, v18
	v_lshl_or_b32 v17, v13, 12, v7
	v_cndmask_b32_e64 v7, 0, 1, vcc
	v_lshlrev_b32_e32 v12, v12, v19
	v_cmp_ne_u32_e32 vcc, v9, v14
	v_cndmask_b32_e64 v9, 0, 1, vcc
	v_cmp_ne_u32_e32 vcc, v12, v16
	v_cndmask_b32_e64 v12, 0, 1, vcc
	v_or_b32_e32 v9, v18, v9
	v_cmp_gt_i32_e32 vcc, 1, v11
	v_cndmask_b32_e32 v9, v15, v9, vcc
	v_or_b32_e32 v12, v19, v12
	v_cmp_gt_i32_e32 vcc, 1, v13
	v_and_b32_e32 v14, 7, v9
	v_cndmask_b32_e32 v12, v17, v12, vcc
	v_cmp_lt_i32_e32 vcc, 5, v14
	v_cmp_eq_u32_e64 s[0:1], 3, v14
	v_lshrrev_b32_e32 v9, 2, v9
	v_and_b32_e32 v15, 7, v12
	s_or_b64 vcc, s[0:1], vcc
	v_cmp_lt_i32_e64 s[2:3], 5, v15
	v_cmp_eq_u32_e64 s[4:5], 3, v15
	v_addc_co_u32_e32 v9, vcc, 0, v9, vcc
	v_lshrrev_b32_e32 v12, 2, v12
	s_or_b64 vcc, s[4:5], s[2:3]
	v_addc_co_u32_e32 v12, vcc, 0, v12, vcc
	v_cmp_gt_i32_e32 vcc, 31, v11
	v_cndmask_b32_e32 v9, v2, v9, vcc
	v_cmp_gt_i32_e32 vcc, 31, v13
	v_lshl_or_b32 v5, v5, 9, v2
	v_cndmask_b32_e32 v12, v2, v12, vcc
	v_cmp_eq_u32_e32 vcc, s18, v11
	v_lshrrev_b32_e32 v10, 16, v10
	v_lshl_or_b32 v7, v7, 9, v2
	v_cndmask_b32_e32 v5, v9, v5, vcc
	v_cmp_eq_u32_e32 vcc, s18, v13
	v_lshrrev_b32_e32 v8, 16, v8
	v_cndmask_b32_e32 v7, v12, v7, vcc
	v_and_or_b32 v5, v10, s17, v5
	v_and_or_b32 v7, v8, s17, v7
	v_and_b32_e32 v5, 0xffff, v5
	v_lshl_or_b32 v5, v7, 16, v5
	global_store_dword v[3:4], v5, off
	global_load_dword v5, v[0:1], off offset:224
	v_lshrrev_b32_e32 v7, 16, v6
	v_mov_b32_e32 v9, s9
	v_add_co_u32_e32 v3, vcc, s8, v3
	v_addc_co_u32_e32 v4, vcc, v4, v9, vcc
	s_waitcnt vmcnt(0)
	v_mul_f16_sdwa v8, v7, v5 dst_sel:DWORD dst_unused:UNUSED_PAD src0_sel:DWORD src1_sel:WORD_1
	v_fma_f16 v8, v6, v5, v8
	v_mul_f16_sdwa v6, v6, v5 dst_sel:DWORD dst_unused:UNUSED_PAD src0_sel:DWORD src1_sel:WORD_1
	v_cvt_f32_f16_e32 v8, v8
	v_fma_f16 v5, v5, v7, -v6
	v_cvt_f32_f16_e32 v7, v5
	v_cvt_f64_f32_e32 v[5:6], v8
	v_cvt_f64_f32_e32 v[7:8], v7
	v_mul_f64 v[5:6], v[5:6], s[14:15]
	v_mul_f64 v[7:8], v[7:8], s[14:15]
	v_and_or_b32 v5, v6, s16, v5
	v_cmp_ne_u32_e32 vcc, 0, v5
	v_and_or_b32 v7, v8, s16, v7
	v_lshrrev_b32_e32 v9, 8, v6
	v_bfe_u32 v10, v6, 20, 11
	v_cndmask_b32_e64 v5, 0, 1, vcc
	v_cmp_ne_u32_e32 vcc, 0, v7
	v_lshrrev_b32_e32 v11, 8, v8
	v_bfe_u32 v12, v8, 20, 11
	v_sub_u32_e32 v13, 0x3f1, v10
	v_cndmask_b32_e64 v7, 0, 1, vcc
	v_and_or_b32 v5, v9, s10, v5
	v_sub_u32_e32 v14, 0x3f1, v12
	v_med3_i32 v9, v13, 0, 13
	v_and_or_b32 v7, v11, s10, v7
	v_or_b32_e32 v13, 0x1000, v5
	v_add_u32_e32 v10, 0xfffffc10, v10
	v_med3_i32 v11, v14, 0, 13
	v_cmp_ne_u32_e32 vcc, 0, v5
	v_or_b32_e32 v15, 0x1000, v7
	v_lshrrev_b32_e32 v17, v9, v13
	v_add_u32_e32 v12, 0xfffffc10, v12
	v_lshl_or_b32 v14, v10, 12, v5
	v_cndmask_b32_e64 v5, 0, 1, vcc
	v_cmp_ne_u32_e32 vcc, 0, v7
	v_lshrrev_b32_e32 v18, v11, v15
	v_lshlrev_b32_e32 v9, v9, v17
	v_lshl_or_b32 v16, v12, 12, v7
	v_cndmask_b32_e64 v7, 0, 1, vcc
	v_lshlrev_b32_e32 v11, v11, v18
	v_cmp_ne_u32_e32 vcc, v9, v13
	v_cndmask_b32_e64 v9, 0, 1, vcc
	v_cmp_ne_u32_e32 vcc, v11, v15
	v_cndmask_b32_e64 v11, 0, 1, vcc
	v_or_b32_e32 v9, v17, v9
	v_cmp_gt_i32_e32 vcc, 1, v10
	v_cndmask_b32_e32 v9, v14, v9, vcc
	v_or_b32_e32 v11, v18, v11
	v_cmp_gt_i32_e32 vcc, 1, v12
	v_and_b32_e32 v13, 7, v9
	v_cndmask_b32_e32 v11, v16, v11, vcc
	v_cmp_lt_i32_e32 vcc, 5, v13
	v_cmp_eq_u32_e64 s[0:1], 3, v13
	v_lshrrev_b32_e32 v9, 2, v9
	v_and_b32_e32 v14, 7, v11
	s_or_b64 vcc, s[0:1], vcc
	v_cmp_lt_i32_e64 s[2:3], 5, v14
	v_cmp_eq_u32_e64 s[4:5], 3, v14
	v_addc_co_u32_e32 v9, vcc, 0, v9, vcc
	v_lshrrev_b32_e32 v11, 2, v11
	s_or_b64 vcc, s[4:5], s[2:3]
	v_addc_co_u32_e32 v11, vcc, 0, v11, vcc
	v_cmp_gt_i32_e32 vcc, 31, v10
	v_cndmask_b32_e32 v9, v2, v9, vcc
	v_cmp_gt_i32_e32 vcc, 31, v12
	v_lshl_or_b32 v5, v5, 9, v2
	v_cndmask_b32_e32 v11, v2, v11, vcc
	v_cmp_eq_u32_e32 vcc, s18, v10
	v_lshrrev_b32_e32 v6, 16, v6
	v_lshl_or_b32 v7, v7, 9, v2
	v_cndmask_b32_e32 v5, v9, v5, vcc
	v_cmp_eq_u32_e32 vcc, s18, v12
	v_lshrrev_b32_e32 v8, 16, v8
	v_cndmask_b32_e32 v7, v11, v7, vcc
	v_and_or_b32 v5, v6, s17, v5
	v_and_or_b32 v6, v8, s17, v7
	v_and_b32_e32 v5, 0xffff, v5
	v_lshl_or_b32 v5, v6, 16, v5
	global_store_dword v[3:4], v5, off
	global_load_dword v7, v[0:1], off offset:656
	v_add_u32_e32 v5, 0x1200, v42
	ds_read2_b32 v[5:6], v5 offset0:36 offset1:144
	v_add_co_u32_e32 v3, vcc, s8, v3
	s_waitcnt lgkmcnt(0)
	v_lshrrev_b32_e32 v8, 16, v5
	s_waitcnt vmcnt(0)
	v_mul_f16_sdwa v9, v8, v7 dst_sel:DWORD dst_unused:UNUSED_PAD src0_sel:DWORD src1_sel:WORD_1
	v_fma_f16 v9, v5, v7, v9
	v_mul_f16_sdwa v5, v5, v7 dst_sel:DWORD dst_unused:UNUSED_PAD src0_sel:DWORD src1_sel:WORD_1
	v_cvt_f32_f16_e32 v9, v9
	v_fma_f16 v5, v7, v8, -v5
	v_cvt_f32_f16_e32 v5, v5
	v_cvt_f64_f32_e32 v[7:8], v9
	v_cvt_f64_f32_e32 v[9:10], v5
	v_mov_b32_e32 v5, s9
	v_mul_f64 v[7:8], v[7:8], s[14:15]
	v_addc_co_u32_e32 v4, vcc, v4, v5, vcc
	v_mul_f64 v[9:10], v[9:10], s[14:15]
	v_and_or_b32 v5, v8, s16, v7
	v_cmp_ne_u32_e32 vcc, 0, v5
	v_lshrrev_b32_e32 v7, 8, v8
	v_and_or_b32 v9, v10, s16, v9
	v_bfe_u32 v11, v8, 20, 11
	v_cndmask_b32_e64 v5, 0, 1, vcc
	v_cmp_ne_u32_e32 vcc, 0, v9
	v_lshrrev_b32_e32 v12, 8, v10
	v_bfe_u32 v13, v10, 20, 11
	v_sub_u32_e32 v14, 0x3f1, v11
	v_cndmask_b32_e64 v9, 0, 1, vcc
	v_and_or_b32 v5, v7, s10, v5
	v_sub_u32_e32 v15, 0x3f1, v13
	v_med3_i32 v7, v14, 0, 13
	v_and_or_b32 v9, v12, s10, v9
	v_or_b32_e32 v14, 0x1000, v5
	v_add_u32_e32 v11, 0xfffffc10, v11
	v_med3_i32 v12, v15, 0, 13
	v_cmp_ne_u32_e32 vcc, 0, v5
	v_or_b32_e32 v16, 0x1000, v9
	v_lshrrev_b32_e32 v18, v7, v14
	v_add_u32_e32 v13, 0xfffffc10, v13
	v_lshl_or_b32 v15, v11, 12, v5
	v_cndmask_b32_e64 v5, 0, 1, vcc
	v_cmp_ne_u32_e32 vcc, 0, v9
	v_lshrrev_b32_e32 v19, v12, v16
	v_lshlrev_b32_e32 v7, v7, v18
	v_lshl_or_b32 v17, v13, 12, v9
	v_cndmask_b32_e64 v9, 0, 1, vcc
	v_lshlrev_b32_e32 v12, v12, v19
	v_cmp_ne_u32_e32 vcc, v7, v14
	v_cndmask_b32_e64 v7, 0, 1, vcc
	v_cmp_ne_u32_e32 vcc, v12, v16
	v_cndmask_b32_e64 v12, 0, 1, vcc
	v_or_b32_e32 v7, v18, v7
	v_cmp_gt_i32_e32 vcc, 1, v11
	v_cndmask_b32_e32 v7, v15, v7, vcc
	v_or_b32_e32 v12, v19, v12
	v_cmp_gt_i32_e32 vcc, 1, v13
	v_and_b32_e32 v14, 7, v7
	v_cndmask_b32_e32 v12, v17, v12, vcc
	v_cmp_lt_i32_e32 vcc, 5, v14
	v_cmp_eq_u32_e64 s[0:1], 3, v14
	v_lshrrev_b32_e32 v7, 2, v7
	v_and_b32_e32 v15, 7, v12
	s_or_b64 vcc, s[0:1], vcc
	v_cmp_lt_i32_e64 s[2:3], 5, v15
	v_cmp_eq_u32_e64 s[4:5], 3, v15
	v_addc_co_u32_e32 v7, vcc, 0, v7, vcc
	v_lshrrev_b32_e32 v12, 2, v12
	s_or_b64 vcc, s[4:5], s[2:3]
	v_addc_co_u32_e32 v12, vcc, 0, v12, vcc
	v_cmp_gt_i32_e32 vcc, 31, v11
	v_cndmask_b32_e32 v7, v2, v7, vcc
	v_cmp_gt_i32_e32 vcc, 31, v13
	v_lshl_or_b32 v5, v5, 9, v2
	v_cndmask_b32_e32 v12, v2, v12, vcc
	v_cmp_eq_u32_e32 vcc, s18, v11
	v_lshrrev_b32_e32 v8, 16, v8
	v_lshl_or_b32 v9, v9, 9, v2
	v_cndmask_b32_e32 v5, v7, v5, vcc
	v_cmp_eq_u32_e32 vcc, s18, v13
	v_lshrrev_b32_e32 v10, 16, v10
	v_cndmask_b32_e32 v7, v12, v9, vcc
	v_and_or_b32 v5, v8, s17, v5
	v_and_or_b32 v7, v10, s17, v7
	v_and_b32_e32 v5, 0xffff, v5
	v_lshl_or_b32 v5, v7, 16, v5
	global_store_dword v[3:4], v5, off
	global_load_dword v5, v[0:1], off offset:1088
	v_lshrrev_b32_e32 v7, 16, v6
	v_mov_b32_e32 v9, s9
	v_add_co_u32_e32 v3, vcc, s8, v3
	v_addc_co_u32_e32 v4, vcc, v4, v9, vcc
	s_waitcnt vmcnt(0)
	v_mul_f16_sdwa v8, v7, v5 dst_sel:DWORD dst_unused:UNUSED_PAD src0_sel:DWORD src1_sel:WORD_1
	v_fma_f16 v8, v6, v5, v8
	v_mul_f16_sdwa v6, v6, v5 dst_sel:DWORD dst_unused:UNUSED_PAD src0_sel:DWORD src1_sel:WORD_1
	v_cvt_f32_f16_e32 v8, v8
	v_fma_f16 v5, v5, v7, -v6
	v_cvt_f32_f16_e32 v7, v5
	v_cvt_f64_f32_e32 v[5:6], v8
	v_cvt_f64_f32_e32 v[7:8], v7
	v_mul_f64 v[5:6], v[5:6], s[14:15]
	v_mul_f64 v[7:8], v[7:8], s[14:15]
	v_and_or_b32 v5, v6, s16, v5
	v_cmp_ne_u32_e32 vcc, 0, v5
	v_and_or_b32 v7, v8, s16, v7
	v_lshrrev_b32_e32 v9, 8, v6
	v_bfe_u32 v10, v6, 20, 11
	v_cndmask_b32_e64 v5, 0, 1, vcc
	v_cmp_ne_u32_e32 vcc, 0, v7
	v_lshrrev_b32_e32 v11, 8, v8
	v_bfe_u32 v12, v8, 20, 11
	v_sub_u32_e32 v13, 0x3f1, v10
	v_cndmask_b32_e64 v7, 0, 1, vcc
	v_and_or_b32 v5, v9, s10, v5
	v_sub_u32_e32 v14, 0x3f1, v12
	v_med3_i32 v9, v13, 0, 13
	v_and_or_b32 v7, v11, s10, v7
	v_or_b32_e32 v13, 0x1000, v5
	v_add_u32_e32 v10, 0xfffffc10, v10
	v_med3_i32 v11, v14, 0, 13
	v_cmp_ne_u32_e32 vcc, 0, v5
	v_or_b32_e32 v15, 0x1000, v7
	v_lshrrev_b32_e32 v17, v9, v13
	v_add_u32_e32 v12, 0xfffffc10, v12
	v_lshl_or_b32 v14, v10, 12, v5
	v_cndmask_b32_e64 v5, 0, 1, vcc
	v_cmp_ne_u32_e32 vcc, 0, v7
	v_lshrrev_b32_e32 v18, v11, v15
	v_lshlrev_b32_e32 v9, v9, v17
	v_lshl_or_b32 v16, v12, 12, v7
	v_cndmask_b32_e64 v7, 0, 1, vcc
	v_lshlrev_b32_e32 v11, v11, v18
	v_cmp_ne_u32_e32 vcc, v9, v13
	v_cndmask_b32_e64 v9, 0, 1, vcc
	v_cmp_ne_u32_e32 vcc, v11, v15
	v_cndmask_b32_e64 v11, 0, 1, vcc
	v_or_b32_e32 v9, v17, v9
	v_cmp_gt_i32_e32 vcc, 1, v10
	v_cndmask_b32_e32 v9, v14, v9, vcc
	v_or_b32_e32 v11, v18, v11
	v_cmp_gt_i32_e32 vcc, 1, v12
	v_and_b32_e32 v13, 7, v9
	v_cndmask_b32_e32 v11, v16, v11, vcc
	v_cmp_lt_i32_e32 vcc, 5, v13
	v_cmp_eq_u32_e64 s[0:1], 3, v13
	v_lshrrev_b32_e32 v9, 2, v9
	v_and_b32_e32 v14, 7, v11
	s_or_b64 vcc, s[0:1], vcc
	v_cmp_lt_i32_e64 s[2:3], 5, v14
	v_cmp_eq_u32_e64 s[4:5], 3, v14
	v_addc_co_u32_e32 v9, vcc, 0, v9, vcc
	v_lshrrev_b32_e32 v11, 2, v11
	s_or_b64 vcc, s[4:5], s[2:3]
	v_addc_co_u32_e32 v11, vcc, 0, v11, vcc
	v_cmp_gt_i32_e32 vcc, 31, v10
	v_cndmask_b32_e32 v9, v2, v9, vcc
	v_cmp_gt_i32_e32 vcc, 31, v12
	v_lshl_or_b32 v5, v5, 9, v2
	v_cndmask_b32_e32 v11, v2, v11, vcc
	v_cmp_eq_u32_e32 vcc, s18, v10
	v_lshrrev_b32_e32 v6, 16, v6
	v_lshl_or_b32 v7, v7, 9, v2
	v_cndmask_b32_e32 v5, v9, v5, vcc
	v_cmp_eq_u32_e32 vcc, s18, v12
	v_lshrrev_b32_e32 v8, 16, v8
	v_cndmask_b32_e32 v7, v11, v7, vcc
	v_and_or_b32 v5, v6, s17, v5
	v_and_or_b32 v6, v8, s17, v7
	v_and_b32_e32 v5, 0xffff, v5
	v_lshl_or_b32 v5, v6, 16, v5
	global_store_dword v[3:4], v5, off
	global_load_dword v7, v[0:1], off offset:1520
	v_add_u32_e32 v5, 0x1400, v42
	ds_read2_b32 v[5:6], v5 offset0:124 offset1:232
	v_add_co_u32_e32 v3, vcc, s8, v3
	s_waitcnt lgkmcnt(0)
	v_lshrrev_b32_e32 v8, 16, v5
	s_waitcnt vmcnt(0)
	v_mul_f16_sdwa v9, v8, v7 dst_sel:DWORD dst_unused:UNUSED_PAD src0_sel:DWORD src1_sel:WORD_1
	v_fma_f16 v9, v5, v7, v9
	v_mul_f16_sdwa v5, v5, v7 dst_sel:DWORD dst_unused:UNUSED_PAD src0_sel:DWORD src1_sel:WORD_1
	v_cvt_f32_f16_e32 v9, v9
	v_fma_f16 v5, v7, v8, -v5
	v_cvt_f32_f16_e32 v5, v5
	v_cvt_f64_f32_e32 v[7:8], v9
	v_cvt_f64_f32_e32 v[9:10], v5
	v_mov_b32_e32 v5, s9
	v_mul_f64 v[7:8], v[7:8], s[14:15]
	v_addc_co_u32_e32 v4, vcc, v4, v5, vcc
	v_mul_f64 v[9:10], v[9:10], s[14:15]
	v_and_or_b32 v5, v8, s16, v7
	v_cmp_ne_u32_e32 vcc, 0, v5
	v_lshrrev_b32_e32 v7, 8, v8
	v_and_or_b32 v9, v10, s16, v9
	v_bfe_u32 v11, v8, 20, 11
	v_cndmask_b32_e64 v5, 0, 1, vcc
	v_cmp_ne_u32_e32 vcc, 0, v9
	v_lshrrev_b32_e32 v12, 8, v10
	v_bfe_u32 v13, v10, 20, 11
	v_sub_u32_e32 v14, 0x3f1, v11
	v_cndmask_b32_e64 v9, 0, 1, vcc
	v_and_or_b32 v5, v7, s10, v5
	v_sub_u32_e32 v15, 0x3f1, v13
	v_med3_i32 v7, v14, 0, 13
	v_and_or_b32 v9, v12, s10, v9
	v_or_b32_e32 v14, 0x1000, v5
	v_add_u32_e32 v11, 0xfffffc10, v11
	v_med3_i32 v12, v15, 0, 13
	v_cmp_ne_u32_e32 vcc, 0, v5
	v_or_b32_e32 v16, 0x1000, v9
	v_lshrrev_b32_e32 v18, v7, v14
	v_add_u32_e32 v13, 0xfffffc10, v13
	v_lshl_or_b32 v15, v11, 12, v5
	v_cndmask_b32_e64 v5, 0, 1, vcc
	v_cmp_ne_u32_e32 vcc, 0, v9
	v_lshrrev_b32_e32 v19, v12, v16
	v_lshlrev_b32_e32 v7, v7, v18
	v_lshl_or_b32 v17, v13, 12, v9
	v_cndmask_b32_e64 v9, 0, 1, vcc
	v_lshlrev_b32_e32 v12, v12, v19
	v_cmp_ne_u32_e32 vcc, v7, v14
	v_cndmask_b32_e64 v7, 0, 1, vcc
	v_cmp_ne_u32_e32 vcc, v12, v16
	v_cndmask_b32_e64 v12, 0, 1, vcc
	v_or_b32_e32 v7, v18, v7
	v_cmp_gt_i32_e32 vcc, 1, v11
	v_cndmask_b32_e32 v7, v15, v7, vcc
	v_or_b32_e32 v12, v19, v12
	v_cmp_gt_i32_e32 vcc, 1, v13
	v_and_b32_e32 v14, 7, v7
	v_cndmask_b32_e32 v12, v17, v12, vcc
	v_cmp_lt_i32_e32 vcc, 5, v14
	v_cmp_eq_u32_e64 s[0:1], 3, v14
	v_lshrrev_b32_e32 v7, 2, v7
	v_and_b32_e32 v15, 7, v12
	s_or_b64 vcc, s[0:1], vcc
	v_cmp_lt_i32_e64 s[2:3], 5, v15
	v_cmp_eq_u32_e64 s[4:5], 3, v15
	v_addc_co_u32_e32 v7, vcc, 0, v7, vcc
	v_lshrrev_b32_e32 v12, 2, v12
	s_or_b64 vcc, s[4:5], s[2:3]
	v_addc_co_u32_e32 v12, vcc, 0, v12, vcc
	v_cmp_gt_i32_e32 vcc, 31, v11
	v_cndmask_b32_e32 v7, v2, v7, vcc
	v_cmp_gt_i32_e32 vcc, 31, v13
	v_lshl_or_b32 v5, v5, 9, v2
	v_cndmask_b32_e32 v12, v2, v12, vcc
	v_cmp_eq_u32_e32 vcc, s18, v11
	v_lshrrev_b32_e32 v8, 16, v8
	v_lshl_or_b32 v9, v9, 9, v2
	v_cndmask_b32_e32 v5, v7, v5, vcc
	v_cmp_eq_u32_e32 vcc, s18, v13
	v_lshrrev_b32_e32 v10, 16, v10
	v_cndmask_b32_e32 v7, v12, v9, vcc
	v_and_or_b32 v5, v8, s17, v5
	v_and_or_b32 v7, v10, s17, v7
	v_and_b32_e32 v5, 0xffff, v5
	v_lshl_or_b32 v5, v7, 16, v5
	global_store_dword v[3:4], v5, off
	global_load_dword v5, v[0:1], off offset:1952
	v_lshrrev_b32_e32 v7, 16, v6
	v_mov_b32_e32 v9, s9
	v_add_co_u32_e32 v3, vcc, s8, v3
	v_addc_co_u32_e32 v4, vcc, v4, v9, vcc
	s_waitcnt vmcnt(0)
	v_mul_f16_sdwa v8, v7, v5 dst_sel:DWORD dst_unused:UNUSED_PAD src0_sel:DWORD src1_sel:WORD_1
	v_fma_f16 v8, v6, v5, v8
	v_mul_f16_sdwa v6, v6, v5 dst_sel:DWORD dst_unused:UNUSED_PAD src0_sel:DWORD src1_sel:WORD_1
	v_cvt_f32_f16_e32 v8, v8
	v_fma_f16 v5, v5, v7, -v6
	v_cvt_f32_f16_e32 v7, v5
	v_cvt_f64_f32_e32 v[5:6], v8
	v_cvt_f64_f32_e32 v[7:8], v7
	v_mul_f64 v[5:6], v[5:6], s[14:15]
	v_mul_f64 v[7:8], v[7:8], s[14:15]
	v_and_or_b32 v5, v6, s16, v5
	v_cmp_ne_u32_e32 vcc, 0, v5
	v_and_or_b32 v7, v8, s16, v7
	v_lshrrev_b32_e32 v9, 8, v6
	v_bfe_u32 v10, v6, 20, 11
	v_cndmask_b32_e64 v5, 0, 1, vcc
	v_cmp_ne_u32_e32 vcc, 0, v7
	v_lshrrev_b32_e32 v11, 8, v8
	v_bfe_u32 v12, v8, 20, 11
	v_sub_u32_e32 v13, 0x3f1, v10
	v_cndmask_b32_e64 v7, 0, 1, vcc
	v_and_or_b32 v5, v9, s10, v5
	v_sub_u32_e32 v14, 0x3f1, v12
	v_med3_i32 v9, v13, 0, 13
	v_and_or_b32 v7, v11, s10, v7
	v_or_b32_e32 v13, 0x1000, v5
	v_add_u32_e32 v10, 0xfffffc10, v10
	v_med3_i32 v11, v14, 0, 13
	v_cmp_ne_u32_e32 vcc, 0, v5
	v_or_b32_e32 v15, 0x1000, v7
	v_lshrrev_b32_e32 v17, v9, v13
	v_add_u32_e32 v12, 0xfffffc10, v12
	v_lshl_or_b32 v14, v10, 12, v5
	v_cndmask_b32_e64 v5, 0, 1, vcc
	v_cmp_ne_u32_e32 vcc, 0, v7
	v_lshrrev_b32_e32 v18, v11, v15
	v_lshlrev_b32_e32 v9, v9, v17
	v_lshl_or_b32 v16, v12, 12, v7
	v_cndmask_b32_e64 v7, 0, 1, vcc
	v_lshlrev_b32_e32 v11, v11, v18
	v_cmp_ne_u32_e32 vcc, v9, v13
	v_cndmask_b32_e64 v9, 0, 1, vcc
	v_cmp_ne_u32_e32 vcc, v11, v15
	v_cndmask_b32_e64 v11, 0, 1, vcc
	v_or_b32_e32 v9, v17, v9
	v_cmp_gt_i32_e32 vcc, 1, v10
	v_cndmask_b32_e32 v9, v14, v9, vcc
	v_or_b32_e32 v11, v18, v11
	v_cmp_gt_i32_e32 vcc, 1, v12
	v_and_b32_e32 v13, 7, v9
	v_cndmask_b32_e32 v11, v16, v11, vcc
	v_cmp_lt_i32_e32 vcc, 5, v13
	v_cmp_eq_u32_e64 s[0:1], 3, v13
	v_lshrrev_b32_e32 v9, 2, v9
	v_and_b32_e32 v14, 7, v11
	s_or_b64 vcc, s[0:1], vcc
	v_cmp_lt_i32_e64 s[2:3], 5, v14
	v_cmp_eq_u32_e64 s[4:5], 3, v14
	v_addc_co_u32_e32 v9, vcc, 0, v9, vcc
	v_lshrrev_b32_e32 v11, 2, v11
	s_or_b64 vcc, s[4:5], s[2:3]
	v_addc_co_u32_e32 v11, vcc, 0, v11, vcc
	v_cmp_gt_i32_e32 vcc, 31, v10
	v_cndmask_b32_e32 v9, v2, v9, vcc
	v_cmp_gt_i32_e32 vcc, 31, v12
	v_lshl_or_b32 v5, v5, 9, v2
	v_cndmask_b32_e32 v11, v2, v11, vcc
	v_cmp_eq_u32_e32 vcc, s18, v10
	v_lshrrev_b32_e32 v6, 16, v6
	v_lshl_or_b32 v7, v7, 9, v2
	v_cndmask_b32_e32 v5, v9, v5, vcc
	v_cmp_eq_u32_e32 vcc, s18, v12
	v_lshrrev_b32_e32 v8, 16, v8
	v_cndmask_b32_e32 v7, v11, v7, vcc
	v_and_or_b32 v5, v6, s17, v5
	v_and_or_b32 v6, v8, s17, v7
	v_and_b32_e32 v5, 0xffff, v5
	v_lshl_or_b32 v5, v6, 16, v5
	global_store_dword v[3:4], v5, off
	global_load_dword v7, v[0:1], off offset:2384
	v_add_u32_e32 v5, 0x1800, v42
	ds_read2_b32 v[5:6], v5 offset0:84 offset1:192
	v_add_co_u32_e32 v3, vcc, s8, v3
	s_waitcnt lgkmcnt(0)
	v_lshrrev_b32_e32 v8, 16, v5
	s_waitcnt vmcnt(0)
	v_mul_f16_sdwa v9, v8, v7 dst_sel:DWORD dst_unused:UNUSED_PAD src0_sel:DWORD src1_sel:WORD_1
	v_fma_f16 v9, v5, v7, v9
	v_mul_f16_sdwa v5, v5, v7 dst_sel:DWORD dst_unused:UNUSED_PAD src0_sel:DWORD src1_sel:WORD_1
	v_cvt_f32_f16_e32 v9, v9
	v_fma_f16 v5, v7, v8, -v5
	v_cvt_f32_f16_e32 v5, v5
	v_cvt_f64_f32_e32 v[7:8], v9
	v_cvt_f64_f32_e32 v[9:10], v5
	v_mov_b32_e32 v5, s9
	v_mul_f64 v[7:8], v[7:8], s[14:15]
	v_addc_co_u32_e32 v4, vcc, v4, v5, vcc
	v_mul_f64 v[9:10], v[9:10], s[14:15]
	v_and_or_b32 v5, v8, s16, v7
	v_cmp_ne_u32_e32 vcc, 0, v5
	v_lshrrev_b32_e32 v7, 8, v8
	v_and_or_b32 v9, v10, s16, v9
	v_bfe_u32 v11, v8, 20, 11
	v_cndmask_b32_e64 v5, 0, 1, vcc
	v_cmp_ne_u32_e32 vcc, 0, v9
	v_lshrrev_b32_e32 v12, 8, v10
	v_bfe_u32 v13, v10, 20, 11
	v_sub_u32_e32 v14, 0x3f1, v11
	v_cndmask_b32_e64 v9, 0, 1, vcc
	v_and_or_b32 v5, v7, s10, v5
	v_sub_u32_e32 v15, 0x3f1, v13
	v_med3_i32 v7, v14, 0, 13
	v_and_or_b32 v9, v12, s10, v9
	v_or_b32_e32 v14, 0x1000, v5
	v_add_u32_e32 v11, 0xfffffc10, v11
	v_med3_i32 v12, v15, 0, 13
	v_cmp_ne_u32_e32 vcc, 0, v5
	v_or_b32_e32 v16, 0x1000, v9
	v_lshrrev_b32_e32 v18, v7, v14
	v_add_u32_e32 v13, 0xfffffc10, v13
	v_lshl_or_b32 v15, v11, 12, v5
	v_cndmask_b32_e64 v5, 0, 1, vcc
	v_cmp_ne_u32_e32 vcc, 0, v9
	v_lshrrev_b32_e32 v19, v12, v16
	v_lshlrev_b32_e32 v7, v7, v18
	v_lshl_or_b32 v17, v13, 12, v9
	v_cndmask_b32_e64 v9, 0, 1, vcc
	v_lshlrev_b32_e32 v12, v12, v19
	v_cmp_ne_u32_e32 vcc, v7, v14
	v_cndmask_b32_e64 v7, 0, 1, vcc
	v_cmp_ne_u32_e32 vcc, v12, v16
	v_cndmask_b32_e64 v12, 0, 1, vcc
	v_or_b32_e32 v7, v18, v7
	v_cmp_gt_i32_e32 vcc, 1, v11
	v_cndmask_b32_e32 v7, v15, v7, vcc
	v_or_b32_e32 v12, v19, v12
	v_cmp_gt_i32_e32 vcc, 1, v13
	v_and_b32_e32 v14, 7, v7
	v_cndmask_b32_e32 v12, v17, v12, vcc
	v_cmp_lt_i32_e32 vcc, 5, v14
	v_cmp_eq_u32_e64 s[0:1], 3, v14
	v_lshrrev_b32_e32 v7, 2, v7
	v_and_b32_e32 v15, 7, v12
	s_or_b64 vcc, s[0:1], vcc
	v_cmp_lt_i32_e64 s[2:3], 5, v15
	v_cmp_eq_u32_e64 s[4:5], 3, v15
	v_addc_co_u32_e32 v7, vcc, 0, v7, vcc
	v_lshrrev_b32_e32 v12, 2, v12
	s_or_b64 vcc, s[4:5], s[2:3]
	v_addc_co_u32_e32 v12, vcc, 0, v12, vcc
	v_cmp_gt_i32_e32 vcc, 31, v11
	v_cndmask_b32_e32 v7, v2, v7, vcc
	v_cmp_gt_i32_e32 vcc, 31, v13
	v_lshl_or_b32 v5, v5, 9, v2
	v_cndmask_b32_e32 v12, v2, v12, vcc
	v_cmp_eq_u32_e32 vcc, s18, v11
	v_lshrrev_b32_e32 v8, 16, v8
	v_lshl_or_b32 v9, v9, 9, v2
	v_cndmask_b32_e32 v5, v7, v5, vcc
	v_cmp_eq_u32_e32 vcc, s18, v13
	v_lshrrev_b32_e32 v10, 16, v10
	v_cndmask_b32_e32 v7, v12, v9, vcc
	v_and_or_b32 v5, v8, s17, v5
	v_and_or_b32 v7, v10, s17, v7
	v_and_b32_e32 v5, 0xffff, v5
	v_lshl_or_b32 v5, v7, 16, v5
	global_store_dword v[3:4], v5, off
	global_load_dword v0, v[0:1], off offset:2816
	v_lshrrev_b32_e32 v1, 16, v6
	v_mov_b32_e32 v7, s9
	s_waitcnt vmcnt(0)
	v_mul_f16_sdwa v5, v1, v0 dst_sel:DWORD dst_unused:UNUSED_PAD src0_sel:DWORD src1_sel:WORD_1
	v_fma_f16 v5, v6, v0, v5
	v_mul_f16_sdwa v6, v6, v0 dst_sel:DWORD dst_unused:UNUSED_PAD src0_sel:DWORD src1_sel:WORD_1
	v_cvt_f32_f16_e32 v5, v5
	v_fma_f16 v0, v0, v1, -v6
	v_cvt_f32_f16_e32 v6, v0
	v_cvt_f64_f32_e32 v[0:1], v5
	v_cvt_f64_f32_e32 v[5:6], v6
	v_mul_f64 v[0:1], v[0:1], s[14:15]
	v_mul_f64 v[5:6], v[5:6], s[14:15]
	v_and_or_b32 v0, v1, s16, v0
	v_cmp_ne_u32_e32 vcc, 0, v0
	v_and_or_b32 v5, v6, s16, v5
	v_lshrrev_b32_e32 v8, 8, v1
	v_bfe_u32 v9, v1, 20, 11
	v_cndmask_b32_e64 v0, 0, 1, vcc
	v_cmp_ne_u32_e32 vcc, 0, v5
	v_lshrrev_b32_e32 v10, 8, v6
	v_bfe_u32 v11, v6, 20, 11
	v_sub_u32_e32 v12, 0x3f1, v9
	v_cndmask_b32_e64 v5, 0, 1, vcc
	v_and_or_b32 v0, v8, s10, v0
	v_sub_u32_e32 v13, 0x3f1, v11
	v_med3_i32 v8, v12, 0, 13
	v_and_or_b32 v5, v10, s10, v5
	v_or_b32_e32 v12, 0x1000, v0
	v_add_u32_e32 v9, 0xfffffc10, v9
	v_med3_i32 v10, v13, 0, 13
	v_cmp_ne_u32_e32 vcc, 0, v0
	v_or_b32_e32 v14, 0x1000, v5
	v_lshrrev_b32_e32 v16, v8, v12
	v_add_u32_e32 v11, 0xfffffc10, v11
	v_lshl_or_b32 v13, v9, 12, v0
	v_cndmask_b32_e64 v0, 0, 1, vcc
	v_cmp_ne_u32_e32 vcc, 0, v5
	v_lshrrev_b32_e32 v17, v10, v14
	v_lshlrev_b32_e32 v8, v8, v16
	v_lshl_or_b32 v15, v11, 12, v5
	v_cndmask_b32_e64 v5, 0, 1, vcc
	v_lshlrev_b32_e32 v10, v10, v17
	v_cmp_ne_u32_e32 vcc, v8, v12
	v_cndmask_b32_e64 v8, 0, 1, vcc
	v_cmp_ne_u32_e32 vcc, v10, v14
	v_cndmask_b32_e64 v10, 0, 1, vcc
	v_or_b32_e32 v8, v16, v8
	v_cmp_gt_i32_e32 vcc, 1, v9
	v_cndmask_b32_e32 v8, v13, v8, vcc
	v_or_b32_e32 v10, v17, v10
	v_cmp_gt_i32_e32 vcc, 1, v11
	v_and_b32_e32 v12, 7, v8
	v_cndmask_b32_e32 v10, v15, v10, vcc
	v_cmp_lt_i32_e32 vcc, 5, v12
	v_cmp_eq_u32_e64 s[0:1], 3, v12
	v_lshrrev_b32_e32 v8, 2, v8
	v_and_b32_e32 v13, 7, v10
	s_or_b64 vcc, s[0:1], vcc
	v_cmp_lt_i32_e64 s[2:3], 5, v13
	v_cmp_eq_u32_e64 s[4:5], 3, v13
	v_addc_co_u32_e32 v8, vcc, 0, v8, vcc
	v_lshrrev_b32_e32 v10, 2, v10
	s_or_b64 vcc, s[4:5], s[2:3]
	v_addc_co_u32_e32 v10, vcc, 0, v10, vcc
	v_cmp_gt_i32_e32 vcc, 31, v9
	v_cndmask_b32_e32 v8, v2, v8, vcc
	v_cmp_gt_i32_e32 vcc, 31, v11
	v_lshl_or_b32 v0, v0, 9, v2
	v_lshl_or_b32 v5, v5, 9, v2
	v_cndmask_b32_e32 v2, v2, v10, vcc
	v_cmp_eq_u32_e32 vcc, s18, v9
	v_lshrrev_b32_e32 v1, 16, v1
	v_cndmask_b32_e32 v0, v8, v0, vcc
	v_cmp_eq_u32_e32 vcc, s18, v11
	v_lshrrev_b32_e32 v6, 16, v6
	v_cndmask_b32_e32 v2, v2, v5, vcc
	v_and_or_b32 v0, v1, s17, v0
	v_and_or_b32 v1, v6, s17, v2
	v_and_b32_e32 v0, 0xffff, v0
	v_lshl_or_b32 v2, v1, 16, v0
	v_add_co_u32_e32 v0, vcc, s8, v3
	v_addc_co_u32_e32 v1, vcc, v4, v7, vcc
	global_store_dword v[0:1], v2, off
.LBB0_15:
	s_endpgm
	.section	.rodata,"a",@progbits
	.p2align	6, 0x0
	.amdhsa_kernel bluestein_single_back_len1836_dim1_half_op_CI_CI
		.amdhsa_group_segment_fixed_size 7344
		.amdhsa_private_segment_fixed_size 0
		.amdhsa_kernarg_size 104
		.amdhsa_user_sgpr_count 6
		.amdhsa_user_sgpr_private_segment_buffer 1
		.amdhsa_user_sgpr_dispatch_ptr 0
		.amdhsa_user_sgpr_queue_ptr 0
		.amdhsa_user_sgpr_kernarg_segment_ptr 1
		.amdhsa_user_sgpr_dispatch_id 0
		.amdhsa_user_sgpr_flat_scratch_init 0
		.amdhsa_user_sgpr_private_segment_size 0
		.amdhsa_uses_dynamic_stack 0
		.amdhsa_system_sgpr_private_segment_wavefront_offset 0
		.amdhsa_system_sgpr_workgroup_id_x 1
		.amdhsa_system_sgpr_workgroup_id_y 0
		.amdhsa_system_sgpr_workgroup_id_z 0
		.amdhsa_system_sgpr_workgroup_info 0
		.amdhsa_system_vgpr_workitem_id 0
		.amdhsa_next_free_vgpr 230
		.amdhsa_next_free_sgpr 50
		.amdhsa_reserve_vcc 1
		.amdhsa_reserve_flat_scratch 0
		.amdhsa_float_round_mode_32 0
		.amdhsa_float_round_mode_16_64 0
		.amdhsa_float_denorm_mode_32 3
		.amdhsa_float_denorm_mode_16_64 3
		.amdhsa_dx10_clamp 1
		.amdhsa_ieee_mode 1
		.amdhsa_fp16_overflow 0
		.amdhsa_exception_fp_ieee_invalid_op 0
		.amdhsa_exception_fp_denorm_src 0
		.amdhsa_exception_fp_ieee_div_zero 0
		.amdhsa_exception_fp_ieee_overflow 0
		.amdhsa_exception_fp_ieee_underflow 0
		.amdhsa_exception_fp_ieee_inexact 0
		.amdhsa_exception_int_div_zero 0
	.end_amdhsa_kernel
	.text
.Lfunc_end0:
	.size	bluestein_single_back_len1836_dim1_half_op_CI_CI, .Lfunc_end0-bluestein_single_back_len1836_dim1_half_op_CI_CI
                                        ; -- End function
	.section	.AMDGPU.csdata,"",@progbits
; Kernel info:
; codeLenInByte = 29556
; NumSgprs: 54
; NumVgprs: 230
; ScratchSize: 0
; MemoryBound: 0
; FloatMode: 240
; IeeeMode: 1
; LDSByteSize: 7344 bytes/workgroup (compile time only)
; SGPRBlocks: 6
; VGPRBlocks: 57
; NumSGPRsForWavesPerEU: 54
; NumVGPRsForWavesPerEU: 230
; Occupancy: 1
; WaveLimiterHint : 1
; COMPUTE_PGM_RSRC2:SCRATCH_EN: 0
; COMPUTE_PGM_RSRC2:USER_SGPR: 6
; COMPUTE_PGM_RSRC2:TRAP_HANDLER: 0
; COMPUTE_PGM_RSRC2:TGID_X_EN: 1
; COMPUTE_PGM_RSRC2:TGID_Y_EN: 0
; COMPUTE_PGM_RSRC2:TGID_Z_EN: 0
; COMPUTE_PGM_RSRC2:TIDIG_COMP_CNT: 0
	.type	__hip_cuid_97e871b0183fa65e,@object ; @__hip_cuid_97e871b0183fa65e
	.section	.bss,"aw",@nobits
	.globl	__hip_cuid_97e871b0183fa65e
__hip_cuid_97e871b0183fa65e:
	.byte	0                               ; 0x0
	.size	__hip_cuid_97e871b0183fa65e, 1

	.ident	"AMD clang version 19.0.0git (https://github.com/RadeonOpenCompute/llvm-project roc-6.4.0 25133 c7fe45cf4b819c5991fe208aaa96edf142730f1d)"
	.section	".note.GNU-stack","",@progbits
	.addrsig
	.addrsig_sym __hip_cuid_97e871b0183fa65e
	.amdgpu_metadata
---
amdhsa.kernels:
  - .args:
      - .actual_access:  read_only
        .address_space:  global
        .offset:         0
        .size:           8
        .value_kind:     global_buffer
      - .actual_access:  read_only
        .address_space:  global
        .offset:         8
        .size:           8
        .value_kind:     global_buffer
      - .actual_access:  read_only
        .address_space:  global
        .offset:         16
        .size:           8
        .value_kind:     global_buffer
      - .actual_access:  read_only
        .address_space:  global
        .offset:         24
        .size:           8
        .value_kind:     global_buffer
      - .actual_access:  read_only
        .address_space:  global
        .offset:         32
        .size:           8
        .value_kind:     global_buffer
      - .offset:         40
        .size:           8
        .value_kind:     by_value
      - .address_space:  global
        .offset:         48
        .size:           8
        .value_kind:     global_buffer
      - .address_space:  global
        .offset:         56
        .size:           8
        .value_kind:     global_buffer
      - .address_space:  global
        .offset:         64
        .size:           8
        .value_kind:     global_buffer
      - .address_space:  global
        .offset:         72
        .size:           8
        .value_kind:     global_buffer
      - .offset:         80
        .size:           4
        .value_kind:     by_value
      - .address_space:  global
        .offset:         88
        .size:           8
        .value_kind:     global_buffer
      - .address_space:  global
        .offset:         96
        .size:           8
        .value_kind:     global_buffer
    .group_segment_fixed_size: 7344
    .kernarg_segment_align: 8
    .kernarg_segment_size: 104
    .language:       OpenCL C
    .language_version:
      - 2
      - 0
    .max_flat_workgroup_size: 153
    .name:           bluestein_single_back_len1836_dim1_half_op_CI_CI
    .private_segment_fixed_size: 0
    .sgpr_count:     54
    .sgpr_spill_count: 0
    .symbol:         bluestein_single_back_len1836_dim1_half_op_CI_CI.kd
    .uniform_work_group_size: 1
    .uses_dynamic_stack: false
    .vgpr_count:     230
    .vgpr_spill_count: 0
    .wavefront_size: 64
amdhsa.target:   amdgcn-amd-amdhsa--gfx906
amdhsa.version:
  - 1
  - 2
...

	.end_amdgpu_metadata
